;; amdgpu-corpus repo=ROCm/rocFFT kind=compiled arch=gfx906 opt=O3
	.text
	.amdgcn_target "amdgcn-amd-amdhsa--gfx906"
	.amdhsa_code_object_version 6
	.protected	bluestein_single_fwd_len416_dim1_sp_op_CI_CI ; -- Begin function bluestein_single_fwd_len416_dim1_sp_op_CI_CI
	.globl	bluestein_single_fwd_len416_dim1_sp_op_CI_CI
	.p2align	8
	.type	bluestein_single_fwd_len416_dim1_sp_op_CI_CI,@function
bluestein_single_fwd_len416_dim1_sp_op_CI_CI: ; @bluestein_single_fwd_len416_dim1_sp_op_CI_CI
; %bb.0:
	s_load_dwordx4 s[8:11], s[4:5], 0x28
	v_lshrrev_b32_e32 v1, 5, v0
	v_mov_b32_e32 v25, 0
	v_lshl_or_b32 v82, s6, 1, v1
	v_mov_b32_e32 v83, v25
	s_waitcnt lgkmcnt(0)
	v_cmp_gt_u64_e32 vcc, s[8:9], v[82:83]
	s_and_saveexec_b64 s[0:1], vcc
	s_cbranch_execz .LBB0_18
; %bb.1:
	s_load_dwordx4 s[0:3], s[4:5], 0x18
	s_load_dwordx4 s[12:15], s[4:5], 0x0
	v_and_b32_e32 v105, 31, v0
	v_lshlrev_b32_e32 v108, 3, v105
	v_and_b32_e32 v0, 32, v0
	s_waitcnt lgkmcnt(0)
	s_load_dwordx4 s[16:19], s[0:1], 0x0
	s_mov_b32 s6, 0xbf3f9e67
	s_mov_b32 s7, 0xbf788fa5
	s_load_dwordx2 s[4:5], s[4:5], 0x38
	s_waitcnt lgkmcnt(0)
	v_mad_u64_u32 v[1:2], s[0:1], s18, v82, 0
	v_mad_u64_u32 v[3:4], s[0:1], s16, v105, 0
	v_mad_u64_u32 v[5:6], s[0:1], s19, v82, v[2:3]
	v_mad_u64_u32 v[6:7], s[0:1], s17, v105, v[4:5]
	v_mov_b32_e32 v2, v5
	v_lshlrev_b64 v[1:2], 3, v[1:2]
	v_mov_b32_e32 v4, v6
	v_mov_b32_e32 v7, s11
	v_lshlrev_b64 v[3:4], 3, v[3:4]
	v_add_co_u32_e32 v1, vcc, s10, v1
	v_addc_co_u32_e32 v2, vcc, v7, v2, vcc
	v_add_co_u32_e32 v1, vcc, v1, v3
	v_addc_co_u32_e32 v2, vcc, v2, v4, vcc
	s_lshl_b64 s[0:1], s[16:17], 8
	global_load_dwordx2 v[3:4], v[1:2], off
	v_mov_b32_e32 v28, s1
	v_add_co_u32_e32 v1, vcc, s0, v1
	v_addc_co_u32_e32 v2, vcc, v2, v28, vcc
	v_add_co_u32_e32 v5, vcc, s0, v1
	v_addc_co_u32_e32 v6, vcc, v2, v28, vcc
	;; [unrolled: 2-line block ×4, first 2 shown]
	global_load_dwordx2 v[80:81], v108, s[12:13]
	global_load_dwordx2 v[74:75], v108, s[12:13] offset:256
	global_load_dwordx2 v[60:61], v108, s[12:13] offset:512
	;; [unrolled: 1-line block ×3, first 2 shown]
	global_load_dwordx2 v[11:12], v[1:2], off
	global_load_dwordx2 v[13:14], v[5:6], off
	;; [unrolled: 1-line block ×4, first 2 shown]
	global_load_dwordx2 v[58:59], v108, s[12:13] offset:1024
	v_add_co_u32_e32 v1, vcc, s0, v9
	v_addc_co_u32_e32 v2, vcc, v10, v28, vcc
	global_load_dwordx2 v[5:6], v[1:2], off
	v_add_co_u32_e32 v1, vcc, s0, v1
	v_addc_co_u32_e32 v2, vcc, v2, v28, vcc
	global_load_dwordx2 v[7:8], v[1:2], off
	v_add_co_u32_e32 v1, vcc, s0, v1
	v_addc_co_u32_e32 v2, vcc, v2, v28, vcc
	global_load_dwordx2 v[78:79], v108, s[12:13] offset:1280
	global_load_dwordx2 v[9:10], v[1:2], off
	global_load_dwordx2 v[76:77], v108, s[12:13] offset:1536
	global_load_dwordx2 v[62:63], v108, s[12:13] offset:1792
	v_add_co_u32_e32 v1, vcc, s0, v1
	v_addc_co_u32_e32 v2, vcc, v2, v28, vcc
	global_load_dwordx2 v[19:20], v[1:2], off
	global_load_dwordx2 v[64:65], v108, s[12:13] offset:2048
	v_add_co_u32_e32 v1, vcc, s0, v1
	v_addc_co_u32_e32 v2, vcc, v2, v28, vcc
	global_load_dwordx2 v[21:22], v[1:2], off
	v_add_co_u32_e32 v1, vcc, s0, v1
	v_addc_co_u32_e32 v2, vcc, v2, v28, vcc
	global_load_dwordx2 v[72:73], v108, s[12:13] offset:2304
	global_load_dwordx2 v[23:24], v[1:2], off
	global_load_dwordx2 v[70:71], v108, s[12:13] offset:2560
	v_add_co_u32_e32 v1, vcc, s0, v1
	v_addc_co_u32_e32 v2, vcc, v2, v28, vcc
	global_load_dwordx2 v[26:27], v[1:2], off
	global_load_dwordx2 v[66:67], v108, s[12:13] offset:2816
	v_add_co_u32_e32 v1, vcc, s0, v1
	v_addc_co_u32_e32 v2, vcc, v2, v28, vcc
	global_load_dwordx2 v[28:29], v[1:2], off
	global_load_dwordx2 v[68:69], v108, s[12:13] offset:3072
	v_mov_b32_e32 v1, 0x1a0
	v_cmp_ne_u32_e32 vcc, 0, v0
	v_cndmask_b32_e32 v109, 0, v1, vcc
	v_or_b32_e32 v1, v109, v105
	v_lshlrev_b32_e32 v107, 3, v1
	v_lshl_or_b32 v106, v109, 3, v108
	s_load_dwordx4 s[8:11], s[2:3], 0x0
	s_mov_b32 s1, 0x3f62ad3f
	s_mov_b32 s0, 0x3f116cb1
	s_mov_b32 s2, 0x3df6dbef
	s_mov_b32 s3, 0xbeb58ec6
	s_waitcnt vmcnt(24)
	v_mul_f32_e32 v0, v4, v81
	v_mul_f32_e32 v1, v3, v81
	v_fmac_f32_e32 v0, v3, v80
	v_fma_f32 v1, v4, v80, -v1
	ds_write_b64 v107, v[0:1]
	s_waitcnt vmcnt(20)
	v_mul_f32_e32 v0, v12, v75
	v_mul_f32_e32 v1, v11, v75
	s_waitcnt vmcnt(19)
	v_mul_f32_e32 v2, v14, v61
	v_mul_f32_e32 v3, v13, v61
	v_fmac_f32_e32 v0, v11, v74
	v_fma_f32 v1, v12, v74, -v1
	v_fmac_f32_e32 v2, v13, v60
	v_fma_f32 v3, v14, v60, -v3
	ds_write2_b64 v106, v[0:1], v[2:3] offset0:32 offset1:64
	s_waitcnt vmcnt(18)
	v_mul_f32_e32 v0, v16, v57
	v_mul_f32_e32 v1, v15, v57
	s_waitcnt vmcnt(16)
	v_mul_f32_e32 v2, v18, v59
	v_mul_f32_e32 v3, v17, v59
	v_fmac_f32_e32 v0, v15, v56
	v_fma_f32 v1, v16, v56, -v1
	v_fmac_f32_e32 v2, v17, v58
	v_fma_f32 v3, v18, v58, -v3
	ds_write2_b64 v106, v[0:1], v[2:3] offset0:96 offset1:128
	;; [unrolled: 11-line block ×3, first 2 shown]
	s_waitcnt vmcnt(10)
	v_mul_f32_e32 v0, v10, v63
	v_mul_f32_e32 v1, v9, v63
	s_waitcnt vmcnt(8)
	v_mul_f32_e32 v2, v20, v65
	v_mul_f32_e32 v3, v19, v65
	v_fmac_f32_e32 v0, v9, v62
	v_fma_f32 v1, v10, v62, -v1
	v_fmac_f32_e32 v2, v19, v64
	v_fma_f32 v3, v20, v64, -v3
	v_add_u32_e32 v10, 0x400, v106
	ds_write2_b64 v10, v[0:1], v[2:3] offset0:96 offset1:128
	s_waitcnt vmcnt(6)
	v_mul_f32_e32 v0, v22, v73
	v_mul_f32_e32 v1, v21, v73
	s_waitcnt vmcnt(4)
	v_mul_f32_e32 v2, v24, v71
	v_mul_f32_e32 v3, v23, v71
	v_fmac_f32_e32 v0, v21, v72
	v_fma_f32 v1, v22, v72, -v1
	v_fmac_f32_e32 v2, v23, v70
	v_fma_f32 v3, v24, v70, -v3
	v_add_u32_e32 v20, 0x800, v106
	ds_write2_b64 v20, v[0:1], v[2:3] offset0:32 offset1:64
	s_waitcnt vmcnt(2)
	v_mul_f32_e32 v0, v27, v67
	v_mul_f32_e32 v1, v26, v67
	s_waitcnt vmcnt(0)
	v_mul_f32_e32 v2, v29, v69
	v_mul_f32_e32 v3, v28, v69
	v_fmac_f32_e32 v0, v26, v66
	v_fma_f32 v1, v27, v66, -v1
	v_fmac_f32_e32 v2, v28, v68
	v_fma_f32 v3, v29, v68, -v3
	ds_write2_b64 v20, v[0:1], v[2:3] offset0:96 offset1:128
	s_waitcnt lgkmcnt(0)
	; wave barrier
	s_waitcnt lgkmcnt(0)
	ds_read_b64 v[30:31], v107
	ds_read2_b64 v[11:14], v106 offset0:32 offset1:64
	ds_read2_b64 v[15:18], v106 offset0:96 offset1:128
	;; [unrolled: 1-line block ×6, first 2 shown]
	s_waitcnt lgkmcnt(5)
	v_add_f32_e32 v8, v30, v11
	v_add_f32_e32 v9, v31, v12
	v_add_f32_e32 v8, v8, v13
	v_add_f32_e32 v9, v9, v14
	s_waitcnt lgkmcnt(4)
	v_add_f32_e32 v8, v8, v15
	v_add_f32_e32 v9, v9, v16
	v_add_f32_e32 v8, v8, v17
	v_add_f32_e32 v9, v9, v18
	;; [unrolled: 5-line block ×5, first 2 shown]
	s_waitcnt lgkmcnt(0)
	v_add_f32_e32 v8, v8, v26
	v_add_f32_e32 v19, v28, v11
	v_add_f32_e32 v32, v29, v12
	v_sub_f32_e32 v11, v11, v28
	v_sub_f32_e32 v12, v12, v29
	v_add_f32_e32 v9, v9, v27
	v_add_f32_e32 v8, v8, v28
	v_mul_f32_e32 v28, 0xbeedf032, v12
	v_mul_f32_e32 v33, 0xbeedf032, v11
	;; [unrolled: 1-line block ×3, first 2 shown]
	v_add_f32_e32 v39, v26, v13
	v_add_f32_e32 v40, v27, v14
	v_sub_f32_e32 v13, v13, v26
	v_sub_f32_e32 v14, v14, v27
	v_add_f32_e32 v26, v23, v15
	v_add_f32_e32 v27, v24, v16
	v_sub_f32_e32 v15, v15, v23
	v_sub_f32_e32 v16, v16, v24
	v_add_f32_e32 v23, v21, v17
	v_sub_f32_e32 v17, v17, v21
	v_mul_f32_e32 v21, 0xbf7e222b, v12
	v_mul_f32_e32 v24, 0xbf6f5d39, v12
	;; [unrolled: 1-line block ×4, first 2 shown]
	v_add_f32_e32 v9, v9, v29
	v_fma_f32 v29, v19, s1, -v28
	v_mov_b32_e32 v34, v33
	v_fmac_f32_e32 v28, 0x3f62ad3f, v19
	v_fma_f32 v36, v19, s0, -v35
	v_mul_f32_e32 v37, 0xbf52af12, v11
	v_fmac_f32_e32 v35, 0x3f116cb1, v19
	v_add_f32_e32 v41, v22, v18
	v_sub_f32_e32 v18, v18, v22
	v_fma_f32 v22, v19, s2, -v21
	v_fmac_f32_e32 v21, 0x3df6dbef, v19
	v_fma_f32 v42, v19, s3, -v24
	v_fmac_f32_e32 v24, 0xbeb58ec6, v19
	;; [unrolled: 2-line block ×4, first 2 shown]
	v_mul_f32_e32 v19, 0xbf7e222b, v11
	v_mul_f32_e32 v47, 0xbf6f5d39, v11
	;; [unrolled: 1-line block ×4, first 2 shown]
	v_fmac_f32_e32 v34, 0x3f62ad3f, v32
	v_mov_b32_e32 v38, v37
	v_mov_b32_e32 v46, v19
	;; [unrolled: 1-line block ×5, first 2 shown]
	v_fma_f32 v33, v32, s1, -v33
	v_fmac_f32_e32 v38, 0x3f116cb1, v32
	v_fma_f32 v37, v32, s0, -v37
	v_fmac_f32_e32 v46, 0x3df6dbef, v32
	v_fma_f32 v19, v32, s2, -v19
	v_fmac_f32_e32 v48, 0xbeb58ec6, v32
	v_fma_f32 v47, v32, s3, -v47
	v_fmac_f32_e32 v50, 0xbf3f9e67, v32
	v_fma_f32 v49, v32, s6, -v49
	v_fmac_f32_e32 v51, 0xbf788fa5, v32
	v_fma_f32 v11, v32, s7, -v11
	v_add_f32_e32 v29, v30, v29
	v_add_f32_e32 v32, v31, v34
	;; [unrolled: 1-line block ×13, first 2 shown]
	v_mul_f32_e32 v30, 0xbf52af12, v14
	v_add_f32_e32 v33, v31, v33
	v_add_f32_e32 v36, v31, v38
	;; [unrolled: 1-line block ×11, first 2 shown]
	v_fma_f32 v31, v39, s0, -v30
	v_add_f32_e32 v29, v31, v29
	v_mul_f32_e32 v31, 0xbf52af12, v13
	v_fmac_f32_e32 v30, 0x3f116cb1, v39
	v_mov_b32_e32 v51, v31
	v_add_f32_e32 v28, v30, v28
	v_fma_f32 v30, v40, s0, -v31
	v_mul_f32_e32 v31, 0xbf6f5d39, v14
	v_add_f32_e32 v30, v30, v33
	v_fma_f32 v33, v39, s3, -v31
	v_fmac_f32_e32 v51, 0x3f116cb1, v40
	v_add_f32_e32 v33, v33, v34
	v_mul_f32_e32 v34, 0xbf6f5d39, v13
	v_fmac_f32_e32 v31, 0xbeb58ec6, v39
	v_add_f32_e32 v32, v51, v32
	v_mov_b32_e32 v51, v34
	v_add_f32_e32 v31, v31, v35
	v_fma_f32 v34, v40, s3, -v34
	v_mul_f32_e32 v35, 0xbe750f2a, v14
	v_add_f32_e32 v34, v34, v37
	v_fma_f32 v37, v39, s7, -v35
	v_add_f32_e32 v22, v37, v22
	v_mul_f32_e32 v37, 0xbe750f2a, v13
	v_fmac_f32_e32 v35, 0xbf788fa5, v39
	v_add_f32_e32 v21, v35, v21
	v_fma_f32 v35, v40, s7, -v37
	v_fmac_f32_e32 v51, 0xbeb58ec6, v40
	v_add_f32_e32 v19, v35, v19
	v_mul_f32_e32 v35, 0x3f29c268, v14
	v_add_f32_e32 v36, v51, v36
	v_mov_b32_e32 v51, v37
	v_fma_f32 v37, v39, s6, -v35
	v_fmac_f32_e32 v51, 0xbf788fa5, v40
	v_add_f32_e32 v37, v37, v42
	v_mul_f32_e32 v42, 0x3f29c268, v13
	v_fmac_f32_e32 v35, 0xbf3f9e67, v39
	v_add_f32_e32 v38, v51, v38
	v_mov_b32_e32 v51, v42
	v_add_f32_e32 v24, v35, v24
	v_fma_f32 v35, v40, s6, -v42
	v_mul_f32_e32 v42, 0x3f7e222b, v14
	v_add_f32_e32 v35, v35, v47
	v_fma_f32 v47, v39, s2, -v42
	v_fmac_f32_e32 v51, 0xbf3f9e67, v40
	v_add_f32_e32 v44, v47, v44
	v_mul_f32_e32 v47, 0x3f7e222b, v13
	v_fmac_f32_e32 v42, 0x3df6dbef, v39
	v_mul_f32_e32 v14, 0x3eedf032, v14
	v_add_f32_e32 v46, v51, v46
	v_mov_b32_e32 v51, v47
	v_add_f32_e32 v42, v42, v43
	v_fma_f32 v43, v40, s2, -v47
	v_fma_f32 v47, v39, s1, -v14
	v_mul_f32_e32 v13, 0x3eedf032, v13
	v_add_f32_e32 v45, v47, v45
	v_mov_b32_e32 v47, v13
	v_fma_f32 v13, v40, s1, -v13
	v_fmac_f32_e32 v14, 0x3f62ad3f, v39
	v_add_f32_e32 v11, v13, v11
	v_mul_f32_e32 v13, 0xbf7e222b, v16
	v_add_f32_e32 v12, v14, v12
	v_fma_f32 v14, v26, s2, -v13
	v_add_f32_e32 v14, v14, v29
	v_mul_f32_e32 v29, 0xbf7e222b, v15
	v_fmac_f32_e32 v13, 0x3df6dbef, v26
	v_mov_b32_e32 v39, v29
	v_add_f32_e32 v13, v13, v28
	v_fma_f32 v28, v27, s2, -v29
	v_mul_f32_e32 v29, 0xbe750f2a, v16
	v_add_f32_e32 v28, v28, v30
	v_fma_f32 v30, v26, s7, -v29
	v_fmac_f32_e32 v39, 0x3df6dbef, v27
	v_add_f32_e32 v30, v30, v33
	v_mul_f32_e32 v33, 0xbe750f2a, v15
	v_fmac_f32_e32 v29, 0xbf788fa5, v26
	v_add_f32_e32 v32, v39, v32
	v_mov_b32_e32 v39, v33
	v_add_f32_e32 v29, v29, v31
	v_fma_f32 v31, v27, s7, -v33
	v_mul_f32_e32 v33, 0x3f6f5d39, v16
	v_add_f32_e32 v31, v31, v34
	v_fma_f32 v34, v26, s3, -v33
	v_add_f32_e32 v22, v34, v22
	v_mul_f32_e32 v34, 0x3f6f5d39, v15
	v_fmac_f32_e32 v33, 0xbeb58ec6, v26
	v_add_f32_e32 v21, v33, v21
	v_fma_f32 v33, v27, s3, -v34
	v_fmac_f32_e32 v39, 0xbf788fa5, v27
	v_add_f32_e32 v19, v33, v19
	v_mul_f32_e32 v33, 0x3eedf032, v16
	v_add_f32_e32 v36, v39, v36
	v_mov_b32_e32 v39, v34
	v_fma_f32 v34, v26, s1, -v33
	v_add_f32_e32 v34, v34, v37
	v_mul_f32_e32 v37, 0x3eedf032, v15
	v_fmac_f32_e32 v33, 0x3f62ad3f, v26
	v_add_f32_e32 v33, v33, v24
	v_fma_f32 v24, v27, s1, -v37
	v_fmac_f32_e32 v39, 0xbeb58ec6, v27
	v_add_f32_e32 v35, v24, v35
	v_mul_f32_e32 v24, 0xbf52af12, v16
	v_fmac_f32_e32 v51, 0x3df6dbef, v40
	v_fmac_f32_e32 v47, 0x3f62ad3f, v40
	v_add_f32_e32 v38, v39, v38
	v_mov_b32_e32 v39, v37
	v_fma_f32 v37, v26, s0, -v24
	v_mul_f32_e32 v40, 0xbf52af12, v15
	v_add_f32_e32 v43, v43, v49
	v_add_f32_e32 v37, v37, v44
	v_mov_b32_e32 v44, v40
	v_fma_f32 v40, v27, s0, -v40
	v_mul_f32_e32 v16, 0xbf29c268, v16
	v_add_f32_e32 v40, v40, v43
	v_fma_f32 v43, v26, s6, -v16
	v_mul_f32_e32 v15, 0xbf29c268, v15
	v_add_f32_e32 v43, v43, v45
	v_mov_b32_e32 v45, v15
	v_fma_f32 v15, v27, s6, -v15
	v_fmac_f32_e32 v16, 0xbf3f9e67, v26
	v_add_f32_e32 v11, v15, v11
	v_mul_f32_e32 v15, 0xbf6f5d39, v18
	v_add_f32_e32 v12, v16, v12
	v_fma_f32 v16, v23, s3, -v15
	v_add_f32_e32 v14, v16, v14
	v_mul_f32_e32 v16, 0xbf6f5d39, v17
	v_fmac_f32_e32 v15, 0xbeb58ec6, v23
	v_fmac_f32_e32 v24, 0x3f116cb1, v26
	v_mov_b32_e32 v26, v16
	v_add_f32_e32 v13, v15, v13
	v_fma_f32 v15, v41, s3, -v16
	v_mul_f32_e32 v16, 0x3f29c268, v18
	v_fmac_f32_e32 v39, 0x3f62ad3f, v27
	v_fmac_f32_e32 v44, 0x3f116cb1, v27
	v_fmac_f32_e32 v45, 0xbf3f9e67, v27
	v_add_f32_e32 v15, v15, v28
	v_fma_f32 v27, v23, s6, -v16
	v_mul_f32_e32 v28, 0x3f29c268, v17
	v_fmac_f32_e32 v16, 0xbf3f9e67, v23
	v_add_f32_e32 v27, v27, v30
	v_mov_b32_e32 v30, v28
	v_add_f32_e32 v16, v16, v29
	v_fma_f32 v28, v41, s6, -v28
	v_mul_f32_e32 v29, 0x3eedf032, v18
	v_add_f32_e32 v28, v28, v31
	v_fma_f32 v31, v23, s1, -v29
	v_add_f32_e32 v22, v31, v22
	v_mul_f32_e32 v31, 0x3eedf032, v17
	v_fmac_f32_e32 v29, 0x3f62ad3f, v23
	v_add_f32_e32 v21, v29, v21
	v_fma_f32 v29, v41, s1, -v31
	v_fmac_f32_e32 v26, 0xbeb58ec6, v41
	v_add_f32_e32 v19, v29, v19
	v_mul_f32_e32 v29, 0xbf7e222b, v18
	v_add_f32_e32 v26, v26, v32
	v_mov_b32_e32 v32, v31
	v_fma_f32 v31, v23, s2, -v29
	v_fmac_f32_e32 v30, 0xbf3f9e67, v41
	v_add_f32_e32 v31, v31, v34
	v_mul_f32_e32 v34, 0xbf7e222b, v17
	v_fmac_f32_e32 v29, 0x3df6dbef, v23
	v_add_f32_e32 v30, v30, v36
	v_mov_b32_e32 v36, v34
	v_add_f32_e32 v29, v29, v33
	v_fma_f32 v33, v41, s2, -v34
	v_mul_f32_e32 v34, 0x3e750f2a, v18
	v_add_f32_e32 v33, v33, v35
	v_fma_f32 v35, v23, s7, -v34
	v_add_f32_e32 v39, v39, v46
	v_fmac_f32_e32 v32, 0x3f62ad3f, v41
	v_fmac_f32_e32 v36, 0x3df6dbef, v41
	v_add_f32_e32 v35, v35, v37
	v_mul_f32_e32 v37, 0x3e750f2a, v17
	v_mul_f32_e32 v18, 0x3f52af12, v18
	v_add_f32_e32 v32, v32, v38
	v_add_f32_e32 v36, v36, v39
	v_mov_b32_e32 v38, v37
	v_fma_f32 v37, v41, s7, -v37
	v_fma_f32 v39, v23, s0, -v18
	v_mul_f32_e32 v17, 0x3f52af12, v17
	v_fmac_f32_e32 v18, 0x3f116cb1, v23
	v_add_f32_e32 v37, v37, v40
	v_mov_b32_e32 v40, v17
	v_add_f32_e32 v12, v18, v12
	v_fma_f32 v17, v41, s0, -v17
	v_add_f32_e32 v18, v7, v1
	v_sub_f32_e32 v1, v1, v7
	v_add_f32_e32 v11, v17, v11
	v_add_f32_e32 v17, v6, v0
	v_sub_f32_e32 v0, v0, v6
	v_mul_f32_e32 v6, 0xbf29c268, v1
	v_fma_f32 v7, v17, s6, -v6
	v_add_f32_e32 v7, v7, v14
	v_mul_f32_e32 v14, 0xbf29c268, v0
	v_fmac_f32_e32 v34, 0xbf788fa5, v23
	v_mov_b32_e32 v23, v14
	v_fmac_f32_e32 v6, 0xbf3f9e67, v17
	v_fmac_f32_e32 v23, 0xbf3f9e67, v18
	v_add_f32_e32 v6, v6, v13
	v_fma_f32 v13, v18, s6, -v14
	v_mul_f32_e32 v14, 0x3f7e222b, v1
	v_add_f32_e32 v23, v23, v26
	v_add_f32_e32 v13, v13, v15
	v_fma_f32 v15, v17, s2, -v14
	v_mul_f32_e32 v26, 0x3f7e222b, v0
	v_fmac_f32_e32 v14, 0x3df6dbef, v17
	v_add_f32_e32 v15, v15, v27
	v_mov_b32_e32 v27, v26
	v_add_f32_e32 v14, v14, v16
	v_fma_f32 v16, v18, s2, -v26
	v_mul_f32_e32 v26, 0xbf52af12, v1
	v_add_f32_e32 v16, v16, v28
	v_fma_f32 v28, v17, s0, -v26
	v_add_f32_e32 v22, v28, v22
	v_mul_f32_e32 v28, 0xbf52af12, v0
	v_fmac_f32_e32 v26, 0x3f116cb1, v17
	v_add_f32_e32 v21, v26, v21
	v_fma_f32 v26, v18, s0, -v28
	v_fmac_f32_e32 v27, 0x3df6dbef, v18
	v_add_f32_e32 v19, v26, v19
	v_mul_f32_e32 v26, 0x3e750f2a, v1
	v_add_f32_e32 v27, v27, v30
	v_mov_b32_e32 v30, v28
	v_fma_f32 v28, v17, s7, -v26
	v_fmac_f32_e32 v30, 0x3f116cb1, v18
	v_add_f32_e32 v28, v28, v31
	v_mul_f32_e32 v31, 0x3e750f2a, v0
	v_fmac_f32_e32 v26, 0xbf788fa5, v17
	v_add_f32_e32 v30, v30, v32
	v_mov_b32_e32 v32, v31
	v_add_f32_e32 v26, v26, v29
	v_fma_f32 v29, v18, s7, -v31
	v_mul_f32_e32 v31, 0x3eedf032, v1
	v_add_f32_e32 v42, v24, v42
	v_add_f32_e32 v29, v29, v33
	v_fma_f32 v33, v17, s1, -v31
	v_add_f32_e32 v34, v34, v42
	v_add_f32_e32 v33, v33, v35
	v_mul_f32_e32 v35, 0x3eedf032, v0
	v_fmac_f32_e32 v31, 0x3f62ad3f, v17
	v_add_f32_e32 v47, v47, v50
	v_add_f32_e32 v31, v31, v34
	v_fma_f32 v34, v18, s1, -v35
	v_mul_f32_e32 v0, 0xbf6f5d39, v0
	v_add_f32_e32 v48, v51, v48
	v_add_f32_e32 v45, v45, v47
	v_fmac_f32_e32 v40, 0x3f116cb1, v41
	v_fmac_f32_e32 v32, 0xbf788fa5, v18
	v_add_f32_e32 v34, v34, v37
	v_mul_f32_e32 v1, 0xbf6f5d39, v1
	v_mov_b32_e32 v37, v0
	v_add_f32_e32 v44, v44, v48
	v_fmac_f32_e32 v38, 0xbf788fa5, v41
	v_add_f32_e32 v39, v39, v43
	v_add_f32_e32 v40, v40, v45
	;; [unrolled: 1-line block ×3, first 2 shown]
	v_mov_b32_e32 v36, v35
	v_fma_f32 v35, v17, s3, -v1
	v_fmac_f32_e32 v37, 0xbeb58ec6, v18
	v_fma_f32 v0, v18, s3, -v0
	v_sub_f32_e32 v43, v3, v5
	v_add_f32_e32 v38, v38, v44
	v_fmac_f32_e32 v36, 0x3f62ad3f, v18
	v_add_f32_e32 v35, v35, v39
	v_add_f32_e32 v37, v37, v40
	v_fmac_f32_e32 v1, 0xbeb58ec6, v17
	v_add_f32_e32 v39, v0, v11
	v_add_f32_e32 v40, v4, v2
	v_mul_f32_e32 v0, 0xbe750f2a, v43
	v_add_f32_e32 v36, v36, v38
	v_add_f32_e32 v38, v1, v12
	v_fma_f32 v1, v40, s7, -v0
	v_fmac_f32_e32 v0, 0xbf788fa5, v40
	v_sub_f32_e32 v42, v2, v4
	v_add_f32_e32 v0, v0, v6
	v_mul_f32_e32 v6, 0x3eedf032, v43
	v_add_f32_e32 v41, v5, v3
	v_add_f32_e32 v2, v1, v7
	v_mul_f32_e32 v1, 0xbe750f2a, v42
	v_fma_f32 v4, v40, s1, -v6
	v_fmac_f32_e32 v6, 0x3f62ad3f, v40
	v_mov_b32_e32 v3, v1
	v_fma_f32 v1, v41, s7, -v1
	v_add_f32_e32 v6, v6, v14
	v_mul_f32_e32 v14, 0xbf29c268, v42
	v_add_f32_e32 v1, v1, v13
	v_mul_f32_e32 v13, 0xbf29c268, v43
	v_mov_b32_e32 v12, v14
	v_fma_f32 v14, v41, s6, -v14
	v_fmac_f32_e32 v3, 0xbf788fa5, v41
	v_mul_f32_e32 v7, 0x3eedf032, v42
	v_fma_f32 v11, v40, s6, -v13
	v_fmac_f32_e32 v13, 0xbf3f9e67, v40
	v_add_f32_e32 v14, v14, v19
	v_mul_f32_e32 v17, 0x3f52af12, v43
	v_mul_f32_e32 v19, 0xbf6f5d39, v43
	v_add_f32_e32 v3, v3, v23
	v_add_f32_e32 v4, v4, v15
	v_mov_b32_e32 v5, v7
	v_add_f32_e32 v13, v13, v21
	v_fma_f32 v15, v40, s0, -v17
	v_fmac_f32_e32 v17, 0x3f116cb1, v40
	v_fma_f32 v21, v40, s3, -v19
	v_mul_f32_e32 v23, 0xbf6f5d39, v42
	v_fmac_f32_e32 v19, 0xbeb58ec6, v40
	v_fmac_f32_e32 v5, 0x3f62ad3f, v41
	v_add_f32_e32 v17, v17, v26
	v_add_f32_e32 v26, v19, v31
	v_fma_f32 v19, v41, s3, -v23
	v_add_f32_e32 v5, v5, v27
	v_add_f32_e32 v27, v19, v34
	v_mul_f32_e32 v19, 0x3f7e222b, v43
	v_fma_f32 v7, v41, s1, -v7
	v_add_f32_e32 v11, v11, v22
	v_mul_f32_e32 v18, 0x3f52af12, v42
	v_mov_b32_e32 v22, v23
	v_fma_f32 v23, v40, s2, -v19
	v_add_f32_e32 v7, v7, v16
	v_fmac_f32_e32 v12, 0xbf3f9e67, v41
	v_add_f32_e32 v15, v15, v28
	v_mov_b32_e32 v16, v18
	v_fma_f32 v18, v41, s0, -v18
	v_add_f32_e32 v28, v23, v35
	v_mul_f32_e32 v23, 0x3f7e222b, v42
	v_fmac_f32_e32 v19, 0x3df6dbef, v40
	v_add_f32_e32 v12, v12, v30
	v_add_f32_e32 v18, v18, v29
	v_mov_b32_e32 v29, v23
	v_add_f32_e32 v30, v19, v38
	v_fma_f32 v19, v41, s2, -v23
	v_fmac_f32_e32 v16, 0x3f116cb1, v41
	v_fmac_f32_e32 v22, 0xbeb58ec6, v41
	v_fmac_f32_e32 v29, 0x3df6dbef, v41
	v_add_f32_e32 v31, v19, v39
	v_mul_u32_u24_e32 v19, 13, v105
	v_add_f32_e32 v16, v16, v32
	v_add_f32_e32 v21, v21, v33
	;; [unrolled: 1-line block ×4, first 2 shown]
	v_add_lshl_u32 v110, v109, v19, 3
	s_waitcnt lgkmcnt(0)
	; wave barrier
	ds_write2_b64 v110, v[8:9], v[2:3] offset1:1
	ds_write2_b64 v110, v[4:5], v[11:12] offset0:2 offset1:3
	ds_write2_b64 v110, v[15:16], v[21:22] offset0:4 offset1:5
	;; [unrolled: 1-line block ×5, first 2 shown]
	ds_write_b64 v110, v[0:1] offset:96
	s_waitcnt lgkmcnt(0)
	; wave barrier
	s_waitcnt lgkmcnt(0)
	ds_read2_b64 v[4:7], v106 offset0:160 offset1:208
	ds_read2_b64 v[12:15], v106 offset0:32 offset1:64
	;; [unrolled: 1-line block ×5, first 2 shown]
	ds_read_b64 v[26:27], v107
	ds_read_b64 v[28:29], v106 offset:2944
	v_or_b32_e32 v24, 0xc0, v105
	s_mov_b64 s[0:1], 0xd0
	v_cmp_gt_u64_e32 vcc, s[0:1], v[24:25]
	s_and_saveexec_b64 s[0:1], vcc
	s_cbranch_execz .LBB0_3
; %bb.2:
	v_add_u32_e32 v0, 0x600, v106
	ds_read2_b64 v[0:3], v0 offset1:208
.LBB0_3:
	s_or_b64 exec, exec, s[0:1]
	v_or_b32_e32 v32, 32, v105
	v_mul_lo_u16_e32 v33, 20, v32
	v_lshrrev_b16_e32 v55, 8, v33
	v_mul_lo_u16_e32 v33, 13, v55
	v_sub_u16_e32 v97, v32, v33
	v_or_b32_e32 v33, 64, v105
	v_mul_lo_u16_e32 v34, 0x4f, v33
	v_lshrrev_b16_e32 v98, 10, v34
	v_mul_lo_u16_e32 v34, 13, v98
	v_mul_lo_u16_e32 v25, 20, v105
	v_sub_u16_e32 v101, v33, v34
	v_or_b32_e32 v34, 0x60, v105
	v_lshrrev_b16_e32 v25, 8, v25
	v_mul_lo_u16_e32 v35, 0x4f, v34
	v_mul_lo_u16_e32 v30, 13, v25
	v_lshrrev_b16_e32 v102, 10, v35
	v_sub_u16_e32 v54, v105, v30
	v_mov_b32_e32 v30, 3
	v_mul_lo_u16_e32 v35, 13, v102
	v_lshlrev_b32_sdwa v31, v30, v54 dst_sel:DWORD dst_unused:UNUSED_PAD src0_sel:DWORD src1_sel:BYTE_0
	v_sub_u16_e32 v103, v34, v35
	v_lshlrev_b32_sdwa v32, v30, v97 dst_sel:DWORD dst_unused:UNUSED_PAD src0_sel:DWORD src1_sel:BYTE_0
	v_lshlrev_b32_sdwa v33, v30, v101 dst_sel:DWORD dst_unused:UNUSED_PAD src0_sel:DWORD src1_sel:BYTE_0
	;; [unrolled: 1-line block ×3, first 2 shown]
	global_load_dwordx2 v[89:90], v31, s[14:15]
	global_load_dwordx2 v[87:88], v32, s[14:15]
	;; [unrolled: 1-line block ×4, first 2 shown]
	v_or_b32_e32 v31, 0x80, v105
	v_mul_lo_u16_e32 v32, 0x4f, v31
	v_lshrrev_b16_e32 v104, 10, v32
	v_mul_lo_u16_e32 v32, 13, v104
	v_sub_u16_e32 v116, v31, v32
	v_or_b32_e32 v32, 0xa0, v105
	v_mul_lo_u16_e32 v33, 0x4f, v32
	v_lshrrev_b16_e32 v117, 10, v33
	v_mul_lo_u16_e32 v33, 13, v117
	v_sub_u16_e32 v118, v32, v33
	v_mul_lo_u16_e32 v33, 0x4f, v24
	v_lshrrev_b16_e32 v119, 10, v33
	v_mul_lo_u16_e32 v33, 13, v119
	v_sub_u16_e32 v111, v24, v33
	v_lshlrev_b32_sdwa v31, v30, v116 dst_sel:DWORD dst_unused:UNUSED_PAD src0_sel:DWORD src1_sel:BYTE_0
	v_lshlrev_b32_sdwa v32, v30, v118 dst_sel:DWORD dst_unused:UNUSED_PAD src0_sel:DWORD src1_sel:BYTE_0
	;; [unrolled: 1-line block ×3, first 2 shown]
	global_load_dwordx2 v[95:96], v31, s[14:15]
	global_load_dwordx2 v[93:94], v32, s[14:15]
	;; [unrolled: 1-line block ×3, first 2 shown]
	v_mov_b32_e32 v24, s13
	s_waitcnt lgkmcnt(0)
	; wave barrier
	s_waitcnt vmcnt(6) lgkmcnt(0)
	v_mul_f32_e32 v30, v7, v90
	v_mul_f32_e32 v31, v6, v90
	v_fma_f32 v6, v6, v89, -v30
	v_fmac_f32_e32 v31, v7, v89
	s_waitcnt vmcnt(5)
	v_mul_f32_e32 v7, v17, v88
	v_mul_f32_e32 v30, v16, v88
	s_waitcnt vmcnt(4)
	v_mul_f32_e32 v32, v19, v86
	v_mul_f32_e32 v34, v18, v86
	;; [unrolled: 3-line block ×3, first 2 shown]
	v_fma_f32 v7, v16, v87, -v7
	v_fmac_f32_e32 v30, v17, v87
	v_fma_f32 v16, v18, v85, -v32
	v_fmac_f32_e32 v34, v19, v85
	;; [unrolled: 2-line block ×3, first 2 shown]
	v_sub_f32_e32 v32, v12, v7
	v_sub_f32_e32 v33, v13, v30
	;; [unrolled: 1-line block ×4, first 2 shown]
	v_fma_f32 v30, v12, 2.0, -v32
	s_waitcnt vmcnt(2)
	v_mul_f32_e32 v35, v23, v96
	v_mul_f32_e32 v42, v22, v96
	s_waitcnt vmcnt(0)
	v_mul_f32_e32 v37, v3, v92
	v_mul_f32_e32 v50, v2, v92
	v_fma_f32 v2, v2, v91, -v37
	v_fmac_f32_e32 v50, v3, v91
	v_sub_f32_e32 v52, v0, v2
	v_sub_f32_e32 v53, v1, v50
	v_fma_f32 v50, v0, 2.0, -v52
	v_mad_legacy_u16 v0, v25, 26, v54
	v_and_b32_e32 v0, 0xff, v0
	v_add_lshl_u32 v112, v109, v0, 3
	v_mad_legacy_u16 v0, v55, 26, v97
	v_and_b32_e32 v0, 0xff, v0
	v_add_lshl_u32 v113, v109, v0, 3
	v_mul_lo_u16_e32 v0, 26, v98
	v_add_u32_sdwa v0, v0, v101 dst_sel:DWORD dst_unused:UNUSED_PAD src0_sel:DWORD src1_sel:BYTE_0
	v_add_lshl_u32 v114, v109, v0, 3
	v_mul_u32_u24_e32 v0, 26, v102
	v_add_u32_sdwa v0, v0, v103 dst_sel:DWORD dst_unused:UNUSED_PAD src0_sel:DWORD src1_sel:BYTE_0
	v_add_lshl_u32 v115, v109, v0, 3
	v_mul_u32_u24_e32 v0, 26, v104
	v_mul_f32_e32 v36, v29, v94
	v_mul_f32_e32 v46, v28, v94
	v_add_u32_sdwa v0, v0, v116 dst_sel:DWORD dst_unused:UNUSED_PAD src0_sel:DWORD src1_sel:BYTE_0
	v_fma_f32 v18, v22, v95, -v35
	v_fmac_f32_e32 v42, v23, v95
	v_fma_f32 v19, v28, v93, -v36
	v_fmac_f32_e32 v46, v29, v93
	v_add_lshl_u32 v116, v109, v0, 3
	v_mul_u32_u24_e32 v0, 26, v117
	v_sub_f32_e32 v28, v26, v6
	v_sub_f32_e32 v29, v27, v31
	;; [unrolled: 1-line block ×8, first 2 shown]
	v_add_u32_sdwa v0, v0, v118 dst_sel:DWORD dst_unused:UNUSED_PAD src0_sel:DWORD src1_sel:BYTE_0
	v_fma_f32 v99, v26, 2.0, -v28
	v_fma_f32 v100, v27, 2.0, -v29
	;; [unrolled: 1-line block ×12, first 2 shown]
	v_add_lshl_u32 v118, v109, v0, 3
	v_mul_u32_u24_e32 v117, 26, v119
	ds_write2_b64 v112, v[99:100], v[28:29] offset1:13
	ds_write2_b64 v113, v[30:31], v[32:33] offset1:13
	;; [unrolled: 1-line block ×6, first 2 shown]
	s_and_saveexec_b64 s[0:1], vcc
	s_cbranch_execz .LBB0_5
; %bb.4:
	v_add_u32_sdwa v0, v117, v111 dst_sel:DWORD dst_unused:UNUSED_PAD src0_sel:DWORD src1_sel:BYTE_0
	v_add_lshl_u32 v0, v109, v0, 3
	ds_write2_b64 v0, v[50:51], v[52:53] offset1:13
.LBB0_5:
	s_or_b64 exec, exec, s[0:1]
	v_add_co_u32_e64 v101, s[0:1], s12, v108
	v_addc_co_u32_e64 v102, s[0:1], 0, v24, s[0:1]
	v_cmp_gt_u32_e64 s[0:1], 26, v105
	s_waitcnt lgkmcnt(0)
	; wave barrier
	s_waitcnt lgkmcnt(0)
                                        ; implicit-def: $vgpr103
	s_and_saveexec_b64 s[2:3], s[0:1]
	s_cbranch_execz .LBB0_7
; %bb.6:
	v_add_u32_e32 v0, 0x400, v106
	ds_read2_b64 v[28:31], v106 offset0:26 offset1:52
	ds_read2_b64 v[32:35], v106 offset0:78 offset1:104
	;; [unrolled: 1-line block ×5, first 2 shown]
	v_add_u32_e32 v0, 0x800, v106
	ds_read2_b64 v[48:51], v0 offset0:30 offset1:56
	ds_read2_b64 v[52:55], v0 offset0:82 offset1:108
	ds_read_b64 v[99:100], v107
	ds_read_b64 v[103:104], v106 offset:3120
.LBB0_7:
	s_or_b64 exec, exec, s[2:3]
	v_subrev_u32_e32 v0, 26, v105
	v_cndmask_b32_e64 v0, v0, v105, s[0:1]
	v_mul_hi_i32_i24_e32 v1, 0x78, v0
	v_mul_i32_i24_e32 v0, 0x78, v0
	v_mov_b32_e32 v2, s15
	v_add_co_u32_e64 v119, s[2:3], s14, v0
	v_addc_co_u32_e64 v120, s[2:3], v2, v1, s[2:3]
	global_load_dwordx4 v[8:11], v[119:120], off offset:104
	global_load_dwordx4 v[4:7], v[119:120], off offset:120
	;; [unrolled: 1-line block ×7, first 2 shown]
	global_load_dwordx2 v[97:98], v[119:120], off offset:216
	s_waitcnt vmcnt(7) lgkmcnt(8)
	v_mul_f32_e32 v119, v29, v9
	s_waitcnt vmcnt(6) lgkmcnt(7)
	v_mul_f32_e32 v126, v34, v7
	v_mul_f32_e32 v120, v28, v9
	s_waitcnt vmcnt(4) lgkmcnt(5)
	v_mul_f32_e32 v134, v42, v3
	;; [unrolled: 3-line block ×3, first 2 shown]
	v_mul_f32_e32 v122, v30, v11
	v_mul_f32_e32 v123, v33, v5
	;; [unrolled: 1-line block ×14, first 2 shown]
	v_fmac_f32_e32 v126, v35, v6
	v_fmac_f32_e32 v134, v43, v2
	;; [unrolled: 1-line block ×3, first 2 shown]
	v_mul_f32_e32 v131, v41, v1
	v_mul_f32_e32 v132, v40, v1
	;; [unrolled: 1-line block ×4, first 2 shown]
	s_waitcnt vmcnt(1) lgkmcnt(2)
	v_mul_f32_e32 v143, v53, v25
	v_mul_f32_e32 v144, v52, v25
	;; [unrolled: 1-line block ×4, first 2 shown]
	s_waitcnt vmcnt(0) lgkmcnt(0)
	v_mul_f32_e32 v147, v104, v98
	v_fma_f32 v28, v28, v8, -v119
	v_fmac_f32_e32 v120, v29, v8
	v_fma_f32 v29, v30, v10, -v121
	v_fmac_f32_e32 v122, v31, v10
	;; [unrolled: 2-line block ×3, first 2 shown]
	v_fma_f32 v31, v34, v6, -v125
	v_fma_f32 v32, v36, v12, -v127
	v_fmac_f32_e32 v128, v37, v12
	v_fma_f32 v33, v38, v14, -v129
	v_fmac_f32_e32 v130, v39, v14
	v_fma_f32 v35, v42, v2, -v133
	v_fma_f32 v36, v44, v20, -v135
	;; [unrolled: 1-line block ×3, first 2 shown]
	v_fmac_f32_e32 v138, v47, v22
	v_fma_f32 v38, v48, v16, -v139
	v_fma_f32 v39, v50, v18, -v141
	v_sub_f32_e32 v46, v100, v134
	v_sub_f32_e32 v47, v126, v142
	v_mul_f32_e32 v148, v103, v98
	v_fma_f32 v34, v40, v0, -v131
	v_fmac_f32_e32 v132, v41, v0
	v_fmac_f32_e32 v136, v45, v20
	;; [unrolled: 1-line block ×3, first 2 shown]
	v_fma_f32 v40, v52, v24, -v143
	v_fmac_f32_e32 v144, v53, v24
	v_fma_f32 v42, v54, v26, -v145
	v_fmac_f32_e32 v146, v55, v26
	v_fma_f32 v44, v103, v97, -v147
	v_sub_f32_e32 v45, v99, v35
	v_sub_f32_e32 v39, v31, v39
	;; [unrolled: 1-line block ×4, first 2 shown]
	v_fma_f32 v41, v100, 2.0, -v46
	v_fma_f32 v50, v126, 2.0, -v47
	v_sub_f32_e32 v36, v28, v36
	v_sub_f32_e32 v119, v30, v38
	v_fmac_f32_e32 v148, v104, v97
	v_fma_f32 v35, v99, 2.0, -v45
	v_fma_f32 v31, v31, 2.0, -v39
	;; [unrolled: 1-line block ×4, first 2 shown]
	v_sub_f32_e32 v29, v33, v42
	v_sub_f32_e32 v54, v130, v146
	v_fma_f32 v48, v28, 2.0, -v36
	v_sub_f32_e32 v28, v32, v40
	v_sub_f32_e32 v122, v124, v140
	v_fma_f32 v51, v30, 2.0, -v119
	v_sub_f32_e32 v30, v34, v44
	v_sub_f32_e32 v38, v41, v50
	v_add_f32_e32 v50, v46, v39
	v_fma_f32 v55, v33, 2.0, -v29
	v_sub_f32_e32 v100, v120, v136
	v_sub_f32_e32 v40, v128, v144
	v_fma_f32 v103, v32, 2.0, -v28
	v_fma_f32 v49, v124, 2.0, -v122
	v_sub_f32_e32 v124, v132, v148
	v_fma_f32 v121, v34, 2.0, -v30
	v_sub_f32_e32 v34, v35, v31
	v_sub_f32_e32 v44, v45, v47
	v_fma_f32 v33, v46, 2.0, -v50
	v_sub_f32_e32 v31, v52, v54
	v_add_f32_e32 v29, v53, v29
	v_fma_f32 v99, v130, 2.0, -v54
	v_fma_f32 v125, v132, 2.0, -v124
	;; [unrolled: 1-line block ×5, first 2 shown]
	v_sub_f32_e32 v45, v48, v103
	v_sub_f32_e32 v52, v36, v40
	v_add_f32_e32 v103, v100, v28
	v_add_f32_e32 v30, v122, v30
	v_mov_b32_e32 v47, v33
	v_fma_f32 v42, v120, 2.0, -v100
	v_fma_f32 v104, v128, 2.0, -v40
	;; [unrolled: 1-line block ×4, first 2 shown]
	v_sub_f32_e32 v123, v51, v121
	v_sub_f32_e32 v121, v49, v125
	v_sub_f32_e32 v28, v119, v124
	v_fma_f32 v100, v122, 2.0, -v30
	v_mov_b32_e32 v40, v32
	v_fmac_f32_e32 v47, 0xbf3504f3, v53
	v_mov_b32_e32 v122, v44
	v_mov_b32_e32 v125, v50
	v_sub_f32_e32 v55, v37, v55
	v_sub_f32_e32 v120, v43, v99
	;; [unrolled: 1-line block ×3, first 2 shown]
	v_fma_f32 v99, v119, 2.0, -v28
	v_fmac_f32_e32 v40, 0xbf3504f3, v54
	v_fmac_f32_e32 v47, 0x3f3504f3, v54
	;; [unrolled: 1-line block ×4, first 2 shown]
	v_mov_b32_e32 v54, v36
	v_mov_b32_e32 v104, v39
	;; [unrolled: 1-line block ×4, first 2 shown]
	v_fmac_f32_e32 v40, 0xbf3504f3, v53
	v_sub_f32_e32 v53, v34, v120
	v_add_f32_e32 v119, v38, v55
	v_fmac_f32_e32 v122, 0xbf3504f3, v29
	v_fmac_f32_e32 v125, 0x3f3504f3, v31
	;; [unrolled: 1-line block ×8, first 2 shown]
	v_sub_f32_e32 v124, v45, v121
	v_add_f32_e32 v126, v46, v123
	v_fmac_f32_e32 v127, 0xbf3504f3, v30
	v_fmac_f32_e32 v128, 0x3f3504f3, v28
	v_mov_b32_e32 v28, v40
	v_mov_b32_e32 v29, v47
	;; [unrolled: 1-line block ×6, first 2 shown]
	v_fmac_f32_e32 v28, 0x3ec3ef15, v54
	v_fmac_f32_e32 v29, 0x3ec3ef15, v104
	;; [unrolled: 1-line block ×12, first 2 shown]
	s_and_saveexec_b64 s[2:3], s[0:1]
	s_cbranch_execz .LBB0_9
; %bb.8:
	v_fma_f32 v139, v35, 2.0, -v34
	v_fma_f32 v35, v37, 2.0, -v55
	v_sub_f32_e32 v55, v139, v35
	v_fma_f32 v140, v42, 2.0, -v46
	v_fma_f32 v35, v49, 2.0, -v121
	;; [unrolled: 1-line block ×4, first 2 shown]
	v_sub_f32_e32 v121, v140, v35
	v_fma_f32 v35, v50, 2.0, -v125
	v_sub_f32_e32 v120, v137, v41
	v_fma_f32 v138, v48, 2.0, -v45
	v_fma_f32 v41, v51, 2.0, -v123
	;; [unrolled: 1-line block ×3, first 2 shown]
	v_mov_b32_e32 v49, v35
	v_sub_f32_e32 v123, v138, v41
	v_fmac_f32_e32 v49, 0xbec3ef15, v37
	v_fma_f32 v41, v52, 2.0, -v127
	v_fmac_f32_e32 v49, 0x3f6c835e, v41
	v_fma_f32 v51, v35, 2.0, -v49
	v_fma_f32 v35, v44, 2.0, -v122
	v_mov_b32_e32 v48, v35
	v_fmac_f32_e32 v48, 0xbec3ef15, v41
	v_fmac_f32_e32 v48, 0xbf6c835e, v37
	v_fma_f32 v37, v38, 2.0, -v119
	v_fma_f32 v50, v35, 2.0, -v48
	;; [unrolled: 1-line block ×3, first 2 shown]
	v_mov_b32_e32 v35, v37
	v_fmac_f32_e32 v35, 0xbf3504f3, v41
	v_fma_f32 v44, v45, 2.0, -v124
	v_fmac_f32_e32 v35, 0x3f3504f3, v44
	v_fma_f32 v38, v37, 2.0, -v35
	v_fma_f32 v37, v34, 2.0, -v53
	v_mov_b32_e32 v34, v37
	v_fmac_f32_e32 v34, 0xbf3504f3, v44
	v_fma_f32 v133, v40, 2.0, -v28
	v_fmac_f32_e32 v34, 0xbf3504f3, v41
	v_fma_f32 v41, v33, 2.0, -v47
	v_fma_f32 v40, v32, 2.0, -v40
	;; [unrolled: 1-line block ×3, first 2 shown]
	v_mov_b32_e32 v33, v41
	v_fma_f32 v36, v36, 2.0, -v54
	v_mov_b32_e32 v32, v40
	v_fmac_f32_e32 v33, 0xbf6c835e, v39
	v_fmac_f32_e32 v32, 0xbf6c835e, v36
	;; [unrolled: 1-line block ×4, first 2 shown]
	v_fma_f32 v36, v137, 2.0, -v120
	v_fma_f32 v39, v140, 2.0, -v121
	v_sub_f32_e32 v45, v36, v39
	v_fma_f32 v134, v47, 2.0, -v29
	v_fma_f32 v47, v36, 2.0, -v45
	;; [unrolled: 1-line block ×4, first 2 shown]
	v_sub_f32_e32 v44, v36, v39
	v_add_f32_e32 v43, v120, v123
	v_sub_f32_e32 v42, v55, v121
	v_fma_f32 v46, v36, 2.0, -v44
	v_add_u32_e32 v36, 0x400, v106
	v_fma_f32 v130, v125, 2.0, -v100
	v_fma_f32 v129, v122, 2.0, -v99
	;; [unrolled: 1-line block ×9, first 2 shown]
	ds_write_b64 v107, v[46:47]
	ds_write2_b64 v106, v[40:41], v[37:38] offset0:26 offset1:52
	ds_write2_b64 v106, v[50:51], v[135:136] offset0:78 offset1:104
	;; [unrolled: 1-line block ×5, first 2 shown]
	v_add_u32_e32 v32, 0x800, v106
	ds_write2_b64 v32, v[48:49], v[42:43] offset0:30 offset1:56
	ds_write2_b64 v32, v[28:29], v[30:31] offset0:82 offset1:108
	ds_write_b64 v106, v[99:100] offset:3120
.LBB0_9:
	s_or_b64 exec, exec, s[2:3]
	s_waitcnt lgkmcnt(0)
	; wave barrier
	s_waitcnt lgkmcnt(0)
	global_load_dwordx2 v[33:34], v[101:102], off offset:3328
	s_add_u32 s2, s12, 0xd00
	s_addc_u32 s3, s13, 0
	global_load_dwordx2 v[53:54], v108, s[2:3] offset:256
	global_load_dwordx2 v[101:102], v108, s[2:3] offset:512
	;; [unrolled: 1-line block ×12, first 2 shown]
	ds_read_b64 v[35:36], v107
	v_lshlrev_b32_e32 v104, 3, v109
	v_add_u32_e32 v32, 0x800, v106
	v_add_u32_e32 v103, v104, v108
	s_mov_b32 s6, 0x3f62ad3f
	s_mov_b32 s3, 0x3f116cb1
	;; [unrolled: 1-line block ×6, first 2 shown]
	s_waitcnt vmcnt(12) lgkmcnt(0)
	v_mul_f32_e32 v37, v36, v34
	v_mul_f32_e32 v38, v35, v34
	v_fma_f32 v37, v35, v33, -v37
	v_fmac_f32_e32 v38, v36, v33
	ds_write_b64 v107, v[37:38]
	ds_read2_b64 v[33:36], v106 offset0:32 offset1:64
	ds_read2_b64 v[37:40], v106 offset0:96 offset1:128
	;; [unrolled: 1-line block ×3, first 2 shown]
	ds_read2_b64 v[45:48], v32 offset1:32
	ds_read2_b64 v[49:52], v32 offset0:64 offset1:96
	ds_read_b64 v[108:109], v103 offset:1536
	ds_read_b64 v[139:140], v106 offset:3072
	s_waitcnt vmcnt(11) lgkmcnt(6)
	v_mul_f32_e32 v141, v34, v54
	v_mul_f32_e32 v55, v33, v54
	s_waitcnt vmcnt(10)
	v_mul_f32_e32 v143, v36, v102
	v_mul_f32_e32 v142, v35, v102
	s_waitcnt vmcnt(9) lgkmcnt(5)
	v_mul_f32_e32 v144, v38, v120
	v_mul_f32_e32 v102, v37, v120
	s_waitcnt vmcnt(8)
	v_mul_f32_e32 v145, v40, v122
	v_mul_f32_e32 v120, v39, v122
	s_waitcnt vmcnt(7) lgkmcnt(4)
	v_mul_f32_e32 v146, v42, v124
	v_mul_f32_e32 v122, v41, v124
	s_waitcnt vmcnt(6) lgkmcnt(1)
	v_mul_f32_e32 v147, v109, v126
	v_mul_f32_e32 v124, v108, v126
	s_waitcnt vmcnt(5)
	v_mul_f32_e32 v148, v44, v128
	v_mul_f32_e32 v126, v43, v128
	s_waitcnt vmcnt(4)
	;; [unrolled: 3-line block ×5, first 2 shown]
	v_mul_f32_e32 v152, v52, v136
	v_mul_f32_e32 v134, v51, v136
	s_waitcnt vmcnt(0) lgkmcnt(0)
	v_mul_f32_e32 v153, v140, v138
	v_mul_f32_e32 v136, v139, v138
	v_fma_f32 v54, v33, v53, -v141
	v_fmac_f32_e32 v55, v34, v53
	v_fma_f32 v141, v35, v101, -v143
	v_fmac_f32_e32 v142, v36, v101
	;; [unrolled: 2-line block ×12, first 2 shown]
	ds_write2_b64 v106, v[54:55], v[141:142] offset0:32 offset1:64
	ds_write2_b64 v106, v[101:102], v[119:120] offset0:96 offset1:128
	ds_write_b64 v103, v[123:124] offset:1536
	ds_write2_b64 v106, v[121:122], v[125:126] offset0:160 offset1:224
	ds_write2_b64 v32, v[127:128], v[129:130] offset1:32
	ds_write2_b64 v32, v[131:132], v[133:134] offset0:64 offset1:96
	ds_write_b64 v106, v[135:136] offset:3072
	s_waitcnt lgkmcnt(0)
	; wave barrier
	s_waitcnt lgkmcnt(0)
	ds_read_b64 v[53:54], v107
	ds_read2_b64 v[33:36], v106 offset0:32 offset1:64
	ds_read2_b64 v[37:40], v106 offset0:96 offset1:128
	;; [unrolled: 1-line block ×3, first 2 shown]
	ds_read2_b64 v[45:48], v32 offset1:32
	ds_read2_b64 v[49:52], v32 offset0:64 offset1:96
	ds_read_b64 v[101:102], v103 offset:1536
	ds_read_b64 v[108:109], v106 offset:3072
	s_waitcnt lgkmcnt(6)
	v_add_f32_e32 v55, v53, v33
	v_add_f32_e32 v119, v54, v34
	;; [unrolled: 1-line block ×4, first 2 shown]
	s_waitcnt lgkmcnt(5)
	v_add_f32_e32 v55, v55, v37
	v_add_f32_e32 v119, v119, v38
	v_add_f32_e32 v55, v55, v39
	v_add_f32_e32 v119, v119, v40
	s_waitcnt lgkmcnt(4)
	v_add_f32_e32 v55, v55, v41
	v_add_f32_e32 v119, v119, v42
	s_waitcnt lgkmcnt(1)
	v_add_f32_e32 v55, v55, v101
	v_add_f32_e32 v119, v119, v102
	;; [unrolled: 1-line block ×9, first 2 shown]
	s_waitcnt lgkmcnt(0)
	v_add_f32_e32 v121, v109, v34
	v_add_f32_e32 v119, v119, v50
	;; [unrolled: 1-line block ×3, first 2 shown]
	v_sub_f32_e32 v34, v34, v109
	v_mul_f32_e32 v122, 0x3f62ad3f, v121
	v_mul_f32_e32 v126, 0x3f116cb1, v121
	;; [unrolled: 1-line block ×6, first 2 shown]
	v_add_f32_e32 v120, v119, v52
	v_add_f32_e32 v119, v55, v108
	;; [unrolled: 1-line block ×3, first 2 shown]
	v_sub_f32_e32 v33, v33, v108
	v_mul_f32_e32 v108, 0xbeedf032, v34
	v_mov_b32_e32 v123, v122
	v_mul_f32_e32 v124, 0xbf52af12, v34
	v_mov_b32_e32 v127, v126
	;; [unrolled: 2-line block ×6, first 2 shown]
	v_add_f32_e32 v120, v120, v109
	v_mov_b32_e32 v109, v108
	v_fmac_f32_e32 v123, 0x3eedf032, v33
	v_fmac_f32_e32 v122, 0xbeedf032, v33
	v_mov_b32_e32 v125, v124
	v_fmac_f32_e32 v127, 0x3f52af12, v33
	v_fmac_f32_e32 v126, 0xbf52af12, v33
	;; [unrolled: 3-line block ×6, first 2 shown]
	v_fmac_f32_e32 v109, 0x3f62ad3f, v55
	v_add_f32_e32 v123, v54, v123
	v_fma_f32 v108, v55, s6, -v108
	v_add_f32_e32 v122, v54, v122
	v_fmac_f32_e32 v125, 0x3f116cb1, v55
	v_add_f32_e32 v127, v54, v127
	v_fma_f32 v124, v55, s3, -v124
	v_add_f32_e32 v126, v54, v126
	;; [unrolled: 4-line block ×6, first 2 shown]
	v_add_f32_e32 v54, v52, v36
	v_sub_f32_e32 v36, v36, v52
	v_add_f32_e32 v109, v53, v109
	v_add_f32_e32 v108, v53, v108
	;; [unrolled: 1-line block ×13, first 2 shown]
	v_sub_f32_e32 v35, v35, v51
	v_mul_f32_e32 v51, 0xbf52af12, v36
	v_mov_b32_e32 v52, v51
	v_fma_f32 v51, v53, s3, -v51
	v_fmac_f32_e32 v52, 0x3f116cb1, v53
	v_mul_f32_e32 v55, 0x3f116cb1, v54
	v_add_f32_e32 v51, v51, v108
	v_mul_f32_e32 v108, 0xbf6f5d39, v36
	v_add_f32_e32 v52, v52, v109
	v_mov_b32_e32 v109, v55
	v_fmac_f32_e32 v55, 0xbf52af12, v35
	v_mov_b32_e32 v121, v108
	v_fma_f32 v108, v53, s7, -v108
	v_fmac_f32_e32 v109, 0x3f52af12, v35
	v_add_f32_e32 v55, v55, v122
	v_fmac_f32_e32 v121, 0xbeb58ec6, v53
	v_mul_f32_e32 v122, 0xbeb58ec6, v54
	v_add_f32_e32 v108, v108, v124
	v_mul_f32_e32 v124, 0xbe750f2a, v36
	v_add_f32_e32 v109, v109, v123
	v_add_f32_e32 v121, v121, v125
	v_mov_b32_e32 v123, v122
	v_fmac_f32_e32 v122, 0xbf6f5d39, v35
	v_mov_b32_e32 v125, v124
	v_fma_f32 v124, v53, s13, -v124
	v_fmac_f32_e32 v123, 0x3f6f5d39, v35
	v_add_f32_e32 v122, v122, v126
	v_fmac_f32_e32 v125, 0xbf788fa5, v53
	v_mul_f32_e32 v126, 0xbf788fa5, v54
	v_add_f32_e32 v124, v124, v128
	v_mul_f32_e32 v128, 0x3f29c268, v36
	v_add_f32_e32 v123, v123, v127
	;; [unrolled: 12-line block ×3, first 2 shown]
	v_add_f32_e32 v129, v129, v133
	v_mov_b32_e32 v131, v130
	v_fmac_f32_e32 v130, 0x3f29c268, v35
	v_mov_b32_e32 v133, v132
	v_fma_f32 v132, v53, s2, -v132
	v_mul_f32_e32 v36, 0x3eedf032, v36
	v_fmac_f32_e32 v131, 0xbf29c268, v35
	v_add_f32_e32 v130, v130, v134
	v_fmac_f32_e32 v133, 0x3df6dbef, v53
	v_mul_f32_e32 v134, 0x3df6dbef, v54
	v_add_f32_e32 v132, v132, v136
	v_mov_b32_e32 v136, v36
	v_mul_f32_e32 v54, 0x3f62ad3f, v54
	v_fma_f32 v36, v53, s6, -v36
	v_add_f32_e32 v131, v131, v135
	v_add_f32_e32 v133, v133, v137
	v_mov_b32_e32 v135, v134
	v_mov_b32_e32 v137, v54
	v_add_f32_e32 v34, v36, v34
	v_add_f32_e32 v36, v50, v38
	v_sub_f32_e32 v38, v38, v50
	v_fmac_f32_e32 v135, 0xbf7e222b, v35
	v_fmac_f32_e32 v134, 0x3f7e222b, v35
	;; [unrolled: 1-line block ×4, first 2 shown]
	v_add_f32_e32 v35, v49, v37
	v_sub_f32_e32 v37, v37, v49
	v_mul_f32_e32 v49, 0xbf7e222b, v38
	v_mov_b32_e32 v50, v49
	v_fmac_f32_e32 v50, 0x3df6dbef, v35
	v_add_f32_e32 v50, v50, v52
	v_mul_f32_e32 v52, 0x3df6dbef, v36
	v_fmac_f32_e32 v136, 0x3f62ad3f, v53
	v_mov_b32_e32 v53, v52
	v_fma_f32 v49, v35, s2, -v49
	v_fmac_f32_e32 v52, 0xbf7e222b, v37
	v_add_f32_e32 v49, v49, v51
	v_add_f32_e32 v51, v52, v55
	v_mul_f32_e32 v52, 0xbe750f2a, v38
	v_add_f32_e32 v33, v54, v33
	v_mov_b32_e32 v54, v52
	v_fma_f32 v52, v35, s13, -v52
	v_fmac_f32_e32 v53, 0x3f7e222b, v37
	v_fmac_f32_e32 v54, 0xbf788fa5, v35
	v_mul_f32_e32 v55, 0xbf788fa5, v36
	v_add_f32_e32 v52, v52, v108
	v_mul_f32_e32 v108, 0x3f6f5d39, v38
	v_add_f32_e32 v53, v53, v109
	v_add_f32_e32 v54, v54, v121
	v_mov_b32_e32 v109, v55
	v_fmac_f32_e32 v55, 0xbe750f2a, v37
	v_mov_b32_e32 v121, v108
	v_fma_f32 v108, v35, s7, -v108
	v_fmac_f32_e32 v109, 0x3e750f2a, v37
	v_add_f32_e32 v55, v55, v122
	v_fmac_f32_e32 v121, 0xbeb58ec6, v35
	v_mul_f32_e32 v122, 0xbeb58ec6, v36
	v_add_f32_e32 v108, v108, v124
	v_mul_f32_e32 v124, 0x3eedf032, v38
	v_add_f32_e32 v109, v109, v123
	v_add_f32_e32 v121, v121, v125
	v_mov_b32_e32 v123, v122
	v_fmac_f32_e32 v122, 0x3f6f5d39, v37
	v_mov_b32_e32 v125, v124
	v_fma_f32 v124, v35, s6, -v124
	v_fmac_f32_e32 v123, 0xbf6f5d39, v37
	v_add_f32_e32 v122, v122, v126
	v_fmac_f32_e32 v125, 0x3f62ad3f, v35
	v_mul_f32_e32 v126, 0x3f62ad3f, v36
	v_add_f32_e32 v124, v124, v128
	v_mul_f32_e32 v128, 0xbf52af12, v38
	v_add_f32_e32 v123, v123, v127
	v_add_f32_e32 v125, v125, v129
	v_mov_b32_e32 v127, v126
	v_fmac_f32_e32 v126, 0x3eedf032, v37
	v_mov_b32_e32 v129, v128
	v_fma_f32 v128, v35, s3, -v128
	v_mul_f32_e32 v38, 0xbf29c268, v38
	v_fmac_f32_e32 v127, 0xbeedf032, v37
	v_add_f32_e32 v126, v126, v130
	v_fmac_f32_e32 v129, 0x3f116cb1, v35
	v_mul_f32_e32 v130, 0x3f116cb1, v36
	v_add_f32_e32 v128, v128, v132
	v_mov_b32_e32 v132, v38
	v_mul_f32_e32 v36, 0xbf3f9e67, v36
	v_add_f32_e32 v127, v127, v131
	v_add_f32_e32 v129, v129, v133
	v_mov_b32_e32 v131, v130
	v_fmac_f32_e32 v132, 0xbf3f9e67, v35
	v_mov_b32_e32 v133, v36
	v_fma_f32 v35, v35, s12, -v38
	v_sub_f32_e32 v38, v40, v48
	v_fmac_f32_e32 v131, 0x3f52af12, v37
	v_fmac_f32_e32 v130, 0xbf52af12, v37
	v_fmac_f32_e32 v133, 0x3f29c268, v37
	v_add_f32_e32 v34, v35, v34
	v_fmac_f32_e32 v36, 0xbf29c268, v37
	v_add_f32_e32 v35, v47, v39
	v_sub_f32_e32 v37, v39, v47
	v_mul_f32_e32 v39, 0xbf6f5d39, v38
	v_add_f32_e32 v33, v36, v33
	v_add_f32_e32 v36, v48, v40
	v_mov_b32_e32 v40, v39
	v_fma_f32 v39, v35, s7, -v39
	v_fmac_f32_e32 v40, 0xbeb58ec6, v35
	v_mul_f32_e32 v47, 0xbeb58ec6, v36
	v_add_f32_e32 v39, v39, v49
	v_mul_f32_e32 v49, 0x3f29c268, v38
	v_add_f32_e32 v40, v40, v50
	v_mov_b32_e32 v48, v47
	v_fmac_f32_e32 v47, 0xbf6f5d39, v37
	v_mov_b32_e32 v50, v49
	v_fma_f32 v49, v35, s12, -v49
	v_fmac_f32_e32 v48, 0x3f6f5d39, v37
	v_add_f32_e32 v47, v47, v51
	v_fmac_f32_e32 v50, 0xbf3f9e67, v35
	v_mul_f32_e32 v51, 0xbf3f9e67, v36
	v_add_f32_e32 v49, v49, v52
	v_mul_f32_e32 v52, 0x3eedf032, v38
	v_add_f32_e32 v48, v48, v53
	v_add_f32_e32 v50, v50, v54
	v_mov_b32_e32 v53, v51
	v_fmac_f32_e32 v51, 0x3f29c268, v37
	v_mov_b32_e32 v54, v52
	v_fma_f32 v52, v35, s6, -v52
	v_fmac_f32_e32 v53, 0xbf29c268, v37
	v_add_f32_e32 v51, v51, v55
	v_fmac_f32_e32 v54, 0x3f62ad3f, v35
	v_mul_f32_e32 v55, 0x3f62ad3f, v36
	v_add_f32_e32 v52, v52, v108
	v_mul_f32_e32 v108, 0xbf7e222b, v38
	v_add_f32_e32 v53, v53, v109
	;; [unrolled: 12-line block ×3, first 2 shown]
	v_add_f32_e32 v121, v121, v125
	v_mov_b32_e32 v123, v122
	v_fmac_f32_e32 v122, 0xbf7e222b, v37
	v_mov_b32_e32 v125, v124
	v_fma_f32 v124, v35, s13, -v124
	v_mul_f32_e32 v38, 0x3f52af12, v38
	v_fmac_f32_e32 v123, 0x3f7e222b, v37
	v_add_f32_e32 v122, v122, v126
	v_fmac_f32_e32 v125, 0xbf788fa5, v35
	v_mul_f32_e32 v126, 0xbf788fa5, v36
	v_add_f32_e32 v124, v124, v128
	v_mov_b32_e32 v128, v38
	v_mul_f32_e32 v36, 0x3f116cb1, v36
	v_add_f32_e32 v123, v123, v127
	v_add_f32_e32 v125, v125, v129
	v_mov_b32_e32 v127, v126
	v_fmac_f32_e32 v128, 0x3f116cb1, v35
	v_mov_b32_e32 v129, v36
	v_fma_f32 v35, v35, s3, -v38
	v_sub_f32_e32 v38, v42, v46
	v_fmac_f32_e32 v127, 0xbe750f2a, v37
	v_fmac_f32_e32 v126, 0x3e750f2a, v37
	;; [unrolled: 1-line block ×3, first 2 shown]
	v_add_f32_e32 v34, v35, v34
	v_fmac_f32_e32 v36, 0x3f52af12, v37
	v_add_f32_e32 v35, v45, v41
	v_sub_f32_e32 v37, v41, v45
	v_mul_f32_e32 v41, 0xbf29c268, v38
	v_add_f32_e32 v33, v36, v33
	v_add_f32_e32 v36, v46, v42
	v_mov_b32_e32 v42, v41
	v_fmac_f32_e32 v42, 0xbf3f9e67, v35
	v_add_f32_e32 v40, v42, v40
	v_mul_f32_e32 v42, 0xbf3f9e67, v36
	v_mov_b32_e32 v45, v42
	v_fma_f32 v41, v35, s12, -v41
	v_fmac_f32_e32 v42, 0xbf29c268, v37
	v_add_f32_e32 v39, v41, v39
	v_add_f32_e32 v41, v42, v47
	v_mul_f32_e32 v42, 0x3f7e222b, v38
	v_mov_b32_e32 v46, v42
	v_fma_f32 v42, v35, s2, -v42
	v_fmac_f32_e32 v45, 0x3f29c268, v37
	v_fmac_f32_e32 v46, 0x3df6dbef, v35
	v_mul_f32_e32 v47, 0x3df6dbef, v36
	v_add_f32_e32 v42, v42, v49
	v_mul_f32_e32 v49, 0xbf52af12, v38
	v_add_f32_e32 v45, v45, v48
	v_add_f32_e32 v46, v46, v50
	v_mov_b32_e32 v48, v47
	v_fmac_f32_e32 v47, 0x3f7e222b, v37
	v_mov_b32_e32 v50, v49
	v_fma_f32 v49, v35, s3, -v49
	v_fmac_f32_e32 v48, 0xbf7e222b, v37
	v_add_f32_e32 v47, v47, v51
	v_fmac_f32_e32 v50, 0x3f116cb1, v35
	v_mul_f32_e32 v51, 0x3f116cb1, v36
	v_add_f32_e32 v49, v49, v52
	v_mul_f32_e32 v52, 0x3e750f2a, v38
	v_add_f32_e32 v48, v48, v53
	v_add_f32_e32 v50, v50, v54
	v_mov_b32_e32 v53, v51
	v_fmac_f32_e32 v51, 0xbf52af12, v37
	v_mov_b32_e32 v54, v52
	v_fma_f32 v52, v35, s13, -v52
	v_fmac_f32_e32 v53, 0x3f52af12, v37
	v_add_f32_e32 v51, v51, v55
	v_fmac_f32_e32 v54, 0xbf788fa5, v35
	v_mul_f32_e32 v55, 0xbf788fa5, v36
	v_add_f32_e32 v52, v52, v108
	v_mul_f32_e32 v108, 0x3eedf032, v38
	v_add_f32_e32 v53, v53, v109
	v_add_f32_e32 v54, v54, v121
	v_mov_b32_e32 v109, v55
	v_fmac_f32_e32 v55, 0x3e750f2a, v37
	v_mov_b32_e32 v121, v108
	v_add_f32_e32 v137, v137, v141
	v_add_f32_e32 v55, v55, v122
	v_fmac_f32_e32 v121, 0x3f62ad3f, v35
	v_mul_f32_e32 v122, 0x3f62ad3f, v36
	v_mul_f32_e32 v36, 0xbeb58ec6, v36
	v_add_f32_e32 v135, v135, v139
	v_add_f32_e32 v134, v134, v138
	;; [unrolled: 1-line block ×4, first 2 shown]
	v_fmac_f32_e32 v109, 0xbe750f2a, v37
	v_add_f32_e32 v121, v121, v125
	v_fma_f32 v108, v35, s6, -v108
	v_mul_f32_e32 v38, 0xbf6f5d39, v38
	v_mov_b32_e32 v125, v36
	v_add_f32_e32 v131, v131, v135
	v_add_f32_e32 v130, v130, v134
	;; [unrolled: 1-line block ×5, first 2 shown]
	v_mov_b32_e32 v123, v122
	v_add_f32_e32 v108, v108, v124
	v_mov_b32_e32 v124, v38
	v_fmac_f32_e32 v125, 0x3f6f5d39, v37
	v_add_f32_e32 v127, v127, v131
	v_add_f32_e32 v126, v126, v130
	;; [unrolled: 1-line block ×3, first 2 shown]
	v_fmac_f32_e32 v123, 0xbeedf032, v37
	v_fmac_f32_e32 v122, 0x3eedf032, v37
	;; [unrolled: 1-line block ×3, first 2 shown]
	v_add_f32_e32 v125, v125, v129
	v_fma_f32 v35, v35, s7, -v38
	v_fmac_f32_e32 v36, 0xbf6f5d39, v37
	v_add_f32_e32 v129, v44, v102
	v_sub_f32_e32 v131, v102, v44
	v_add_f32_e32 v123, v123, v127
	v_add_f32_e32 v122, v122, v126
	v_add_f32_e32 v124, v124, v128
	v_add_f32_e32 v126, v35, v34
	v_add_f32_e32 v127, v36, v33
	v_add_f32_e32 v128, v43, v101
	v_mul_f32_e32 v35, 0xbe750f2a, v131
	v_mul_f32_e32 v36, 0xbf788fa5, v129
	v_sub_f32_e32 v130, v101, v43
	v_mov_b32_e32 v33, v35
	v_mov_b32_e32 v34, v36
	v_fma_f32 v35, v128, s13, -v35
	v_mul_f32_e32 v37, 0x3eedf032, v131
	v_fmac_f32_e32 v34, 0x3e750f2a, v130
	v_add_f32_e32 v101, v35, v39
	v_fmac_f32_e32 v36, 0xbe750f2a, v130
	v_mov_b32_e32 v35, v37
	v_fma_f32 v37, v128, s6, -v37
	v_fmac_f32_e32 v33, 0xbf788fa5, v128
	v_add_f32_e32 v34, v34, v45
	v_add_f32_e32 v102, v36, v41
	;; [unrolled: 1-line block ×3, first 2 shown]
	v_mul_f32_e32 v41, 0xbf29c268, v131
	v_mul_f32_e32 v42, 0xbf3f9e67, v129
	;; [unrolled: 1-line block ×3, first 2 shown]
	v_add_f32_e32 v33, v33, v40
	v_mul_f32_e32 v38, 0x3f62ad3f, v129
	v_mov_b32_e32 v39, v41
	v_mov_b32_e32 v40, v42
	;; [unrolled: 1-line block ×3, first 2 shown]
	v_fmac_f32_e32 v35, 0x3f62ad3f, v128
	v_mov_b32_e32 v36, v38
	v_fmac_f32_e32 v39, 0xbf3f9e67, v128
	v_fmac_f32_e32 v40, 0x3f29c268, v130
	v_fma_f32 v41, v128, s12, -v41
	v_fmac_f32_e32 v43, 0x3f116cb1, v128
	v_add_f32_e32 v35, v35, v46
	v_fmac_f32_e32 v36, 0xbeedf032, v130
	v_fmac_f32_e32 v38, 0x3eedf032, v130
	v_add_f32_e32 v39, v39, v50
	v_add_f32_e32 v40, v40, v53
	;; [unrolled: 1-line block ×3, first 2 shown]
	v_fmac_f32_e32 v42, 0xbf29c268, v130
	v_add_f32_e32 v43, v43, v54
	v_mul_f32_e32 v46, 0x3f116cb1, v129
	v_fma_f32 v45, v128, s3, -v45
	v_mul_f32_e32 v49, 0xbf6f5d39, v131
	v_mul_f32_e32 v50, 0xbeb58ec6, v129
	;; [unrolled: 1-line block ×4, first 2 shown]
	v_add_f32_e32 v36, v36, v48
	v_add_f32_e32 v38, v38, v47
	;; [unrolled: 1-line block ×3, first 2 shown]
	v_mov_b32_e32 v44, v46
	v_add_f32_e32 v45, v45, v52
	v_mov_b32_e32 v47, v49
	v_mov_b32_e32 v48, v50
	;; [unrolled: 1-line block ×4, first 2 shown]
	v_fmac_f32_e32 v44, 0xbf52af12, v130
	v_fmac_f32_e32 v46, 0x3f52af12, v130
	;; [unrolled: 1-line block ×4, first 2 shown]
	v_fma_f32 v49, v128, s7, -v49
	v_fmac_f32_e32 v50, 0xbf6f5d39, v130
	v_fmac_f32_e32 v51, 0x3df6dbef, v128
	;; [unrolled: 1-line block ×3, first 2 shown]
	v_fma_f32 v53, v128, s2, -v53
	v_fmac_f32_e32 v54, 0x3f7e222b, v130
	v_add_f32_e32 v44, v44, v109
	v_add_f32_e32 v46, v46, v55
	;; [unrolled: 1-line block ×10, first 2 shown]
	s_waitcnt lgkmcnt(0)
	; wave barrier
	ds_write2_b64 v110, v[119:120], v[33:34] offset1:1
	ds_write2_b64 v110, v[35:36], v[39:40] offset0:2 offset1:3
	ds_write2_b64 v110, v[43:44], v[47:48] offset0:4 offset1:5
	ds_write2_b64 v110, v[51:52], v[53:54] offset0:6 offset1:7
	ds_write2_b64 v110, v[49:50], v[45:46] offset0:8 offset1:9
	ds_write2_b64 v110, v[41:42], v[37:38] offset0:10 offset1:11
	ds_write_b64 v110, v[101:102] offset:96
	v_add_u32_e32 v33, 0x400, v106
	s_waitcnt lgkmcnt(0)
	; wave barrier
	s_waitcnt lgkmcnt(0)
	ds_read2_b64 v[50:53], v106 offset0:160 offset1:208
	ds_read2_b64 v[38:41], v106 offset0:32 offset1:64
	ds_read2_b64 v[42:45], v33 offset0:112 offset1:144
	ds_read2_b64 v[46:49], v106 offset0:96 offset1:128
	ds_read2_b64 v[32:35], v32 offset0:48 offset1:80
	ds_read_b64 v[54:55], v107
	ds_read_b64 v[36:37], v106 offset:2944
	s_and_saveexec_b64 s[2:3], vcc
	s_cbranch_execz .LBB0_11
; %bb.10:
	ds_read_b64 v[101:102], v103 offset:1536
	ds_read_b64 v[28:29], v106 offset:3200
.LBB0_11:
	s_or_b64 exec, exec, s[2:3]
	s_waitcnt lgkmcnt(6)
	v_mul_f32_e32 v108, v90, v53
	v_fmac_f32_e32 v108, v89, v52
	v_mul_f32_e32 v52, v90, v52
	v_fma_f32 v52, v89, v53, -v52
	s_waitcnt lgkmcnt(4)
	v_mul_f32_e32 v53, v88, v43
	v_fmac_f32_e32 v53, v87, v42
	v_mul_f32_e32 v42, v88, v42
	v_fma_f32 v42, v87, v43, -v42
	v_mul_f32_e32 v43, v86, v45
	v_fmac_f32_e32 v43, v85, v44
	v_mul_f32_e32 v44, v86, v44
	v_fma_f32 v45, v85, v45, -v44
	s_waitcnt lgkmcnt(2)
	v_mul_f32_e32 v85, v84, v33
	v_fmac_f32_e32 v85, v83, v32
	v_mul_f32_e32 v32, v84, v32
	v_fma_f32 v86, v83, v33, -v32
	v_mul_f32_e32 v32, v96, v34
	v_fma_f32 v88, v95, v35, -v32
	s_waitcnt lgkmcnt(0)
	v_mul_f32_e32 v89, v94, v37
	v_mul_f32_e32 v32, v94, v36
	;; [unrolled: 1-line block ×3, first 2 shown]
	v_fmac_f32_e32 v89, v93, v36
	v_fma_f32 v90, v93, v37, -v32
	v_mul_f32_e32 v93, v92, v29
	v_fmac_f32_e32 v87, v95, v34
	v_fmac_f32_e32 v93, v91, v28
	v_mul_f32_e32 v28, v92, v28
	v_fma_f32 v29, v91, v29, -v28
	v_sub_f32_e32 v37, v55, v52
	v_sub_f32_e32 v32, v38, v53
	;; [unrolled: 1-line block ×8, first 2 shown]
	v_fma_f32 v34, v40, 2.0, -v44
	v_fma_f32 v35, v41, 2.0, -v45
	v_sub_f32_e32 v40, v46, v85
	v_sub_f32_e32 v41, v47, v86
	v_fma_f32 v42, v48, 2.0, -v52
	v_fma_f32 v43, v49, 2.0, -v53
	v_sub_f32_e32 v48, v50, v89
	v_sub_f32_e32 v49, v51, v90
	;; [unrolled: 1-line block ×4, first 2 shown]
	v_fma_f32 v83, v54, 2.0, -v36
	v_fma_f32 v84, v55, 2.0, -v37
	;; [unrolled: 1-line block ×10, first 2 shown]
	s_waitcnt lgkmcnt(0)
	; wave barrier
	ds_write2_b64 v112, v[83:84], v[36:37] offset1:13
	ds_write2_b64 v113, v[38:39], v[32:33] offset1:13
	;; [unrolled: 1-line block ×6, first 2 shown]
	s_and_saveexec_b64 s[2:3], vcc
	s_cbranch_execz .LBB0_13
; %bb.12:
	v_add_u32_sdwa v85, v117, v111 dst_sel:DWORD dst_unused:UNUSED_PAD src0_sel:DWORD src1_sel:BYTE_0
	v_lshl_add_u32 v85, v85, 3, v104
	ds_write2_b64 v85, v[50:51], v[28:29] offset1:13
.LBB0_13:
	s_or_b64 exec, exec, s[2:3]
	s_waitcnt lgkmcnt(0)
	; wave barrier
	s_waitcnt lgkmcnt(0)
	s_and_saveexec_b64 s[2:3], s[0:1]
	s_cbranch_execz .LBB0_15
; %bb.14:
	v_add_u32_e32 v28, 0x400, v106
	ds_read2_b64 v[36:39], v106 offset0:26 offset1:52
	ds_read2_b64 v[32:35], v106 offset0:78 offset1:104
	;; [unrolled: 1-line block ×5, first 2 shown]
	v_add_u32_e32 v28, 0x800, v106
	ds_read2_b64 v[48:51], v28 offset0:30 offset1:56
	ds_read2_b64 v[28:31], v28 offset0:82 offset1:108
	ds_read_b64 v[83:84], v107
	ds_read_b64 v[99:100], v106 offset:3120
.LBB0_15:
	s_or_b64 exec, exec, s[2:3]
	s_and_saveexec_b64 s[2:3], s[0:1]
	s_cbranch_execz .LBB0_17
; %bb.16:
	s_waitcnt lgkmcnt(6)
	v_mul_f32_e32 v87, v15, v47
	v_mul_f32_e32 v15, v15, v46
	v_fmac_f32_e32 v87, v14, v46
	s_waitcnt lgkmcnt(2)
	v_mul_f32_e32 v88, v27, v31
	v_fma_f32 v14, v14, v47, -v15
	v_mul_f32_e32 v15, v27, v30
	v_mul_f32_e32 v27, v1, v41
	;; [unrolled: 1-line block ×3, first 2 shown]
	v_fmac_f32_e32 v27, v0, v40
	v_fma_f32 v40, v0, v41, -v1
	s_waitcnt lgkmcnt(0)
	v_mul_f32_e32 v0, v98, v99
	v_mul_f32_e32 v85, v11, v38
	;; [unrolled: 1-line block ×3, first 2 shown]
	v_fma_f32 v0, v97, v100, -v0
	v_fma_f32 v85, v10, v39, -v85
	v_mul_f32_e32 v86, v23, v54
	v_fmac_f32_e32 v11, v10, v38
	v_mul_f32_e32 v10, v23, v55
	v_mul_f32_e32 v23, v5, v32
	v_sub_f32_e32 v41, v40, v0
	v_mul_f32_e32 v5, v5, v33
	v_mul_f32_e32 v0, v17, v49
	v_fmac_f32_e32 v88, v26, v30
	v_fma_f32 v15, v26, v31, -v15
	v_mul_f32_e32 v26, v17, v48
	v_fmac_f32_e32 v5, v4, v32
	v_fmac_f32_e32 v0, v16, v48
	v_fma_f32 v26, v16, v49, -v26
	v_mul_f32_e32 v46, v13, v45
	v_sub_f32_e32 v16, v5, v0
	v_mul_f32_e32 v0, v13, v44
	v_fmac_f32_e32 v46, v12, v44
	v_fma_f32 v12, v12, v45, -v0
	v_mul_f32_e32 v0, v25, v28
	v_fma_f32 v0, v24, v29, -v0
	v_mul_f32_e32 v38, v9, v36
	v_sub_f32_e32 v13, v12, v0
	v_mul_f32_e32 v9, v9, v37
	v_mul_f32_e32 v0, v21, v53
	;; [unrolled: 1-line block ×3, first 2 shown]
	v_fmac_f32_e32 v9, v8, v36
	v_fmac_f32_e32 v0, v20, v52
	v_mul_f32_e32 v90, v3, v42
	v_mul_f32_e32 v91, v7, v35
	;; [unrolled: 1-line block ×3, first 2 shown]
	v_fma_f32 v39, v20, v53, -v39
	v_sub_f32_e32 v20, v9, v0
	v_mul_f32_e32 v0, v7, v34
	v_fma_f32 v90, v2, v43, -v90
	v_fmac_f32_e32 v91, v6, v34
	v_fmac_f32_e32 v92, v18, v50
	v_mul_f32_e32 v47, v25, v29
	v_fma_f32 v6, v6, v35, -v0
	v_mul_f32_e32 v0, v19, v50
	v_fma_f32 v86, v22, v55, -v86
	v_sub_f32_e32 v90, v84, v90
	v_sub_f32_e32 v92, v91, v92
	v_mul_f32_e32 v30, v98, v100
	v_fma_f32 v38, v8, v37, -v38
	v_fmac_f32_e32 v47, v24, v28
	v_fma_f32 v0, v18, v51, -v0
	v_sub_f32_e32 v86, v85, v86
	v_sub_f32_e32 v88, v87, v88
	;; [unrolled: 1-line block ×3, first 2 shown]
	v_fmac_f32_e32 v10, v22, v54
	v_fma_f32 v23, v4, v33, -v23
	v_fmac_f32_e32 v30, v97, v99
	v_sub_f32_e32 v39, v38, v39
	v_sub_f32_e32 v47, v46, v47
	;; [unrolled: 1-line block ×3, first 2 shown]
	v_mul_f32_e32 v0, v3, v43
	v_sub_f32_e32 v89, v86, v88
	v_mov_b32_e32 v94, v93
	v_sub_f32_e32 v15, v14, v15
	v_sub_f32_e32 v10, v11, v10
	;; [unrolled: 1-line block ×5, first 2 shown]
	v_fmac_f32_e32 v0, v2, v42
	v_fma_f32 v18, v84, 2.0, -v90
	v_fma_f32 v6, v6, 2.0, -v7
	v_fmac_f32_e32 v94, 0x3f3504f3, v89
	v_add_f32_e32 v22, v15, v10
	v_sub_f32_e32 v31, v26, v30
	v_mov_b32_e32 v55, v54
	v_add_f32_e32 v21, v13, v20
	v_sub_f32_e32 v2, v83, v0
	v_sub_f32_e32 v28, v18, v6
	v_fma_f32 v29, v11, 2.0, -v10
	v_fma_f32 v6, v87, 2.0, -v88
	v_fmac_f32_e32 v94, 0xbf3504f3, v22
	v_fmac_f32_e32 v55, 0x3f3504f3, v31
	v_add_f32_e32 v17, v41, v16
	v_mov_b32_e32 v24, v21
	v_add_f32_e32 v19, v7, v2
	v_sub_f32_e32 v32, v29, v6
	v_fma_f32 v6, v12, 2.0, -v13
	v_fma_f32 v13, v5, 2.0, -v16
	;; [unrolled: 1-line block ×3, first 2 shown]
	v_fmac_f32_e32 v55, 0xbf3504f3, v17
	v_fmac_f32_e32 v24, 0x3f3504f3, v17
	v_mov_b32_e32 v25, v19
	v_sub_f32_e32 v27, v13, v5
	v_fma_f32 v23, v23, 2.0, -v26
	v_fma_f32 v5, v40, 2.0, -v41
	v_fma_f32 v16, v16, 2.0, -v17
	v_fma_f32 v17, v93, 2.0, -v94
	v_fmac_f32_e32 v24, 0x3f3504f3, v31
	v_fmac_f32_e32 v25, 0x3f3504f3, v22
	v_sub_f32_e32 v36, v23, v5
	v_fma_f32 v37, v9, 2.0, -v20
	v_fma_f32 v5, v46, 2.0, -v47
	;; [unrolled: 1-line block ×5, first 2 shown]
	v_mov_b32_e32 v18, v17
	v_fmac_f32_e32 v25, 0x3f3504f3, v89
	v_fma_f32 v34, v38, 2.0, -v39
	v_sub_f32_e32 v38, v37, v5
	v_fma_f32 v41, v85, 2.0, -v86
	v_fma_f32 v5, v14, 2.0, -v15
	;; [unrolled: 1-line block ×4, first 2 shown]
	v_fmac_f32_e32 v18, 0xbec3ef15, v22
	v_fma_f32 v21, v21, 2.0, -v24
	v_sub_f32_e32 v14, v41, v5
	v_fma_f32 v15, v83, 2.0, -v2
	v_fma_f32 v5, v91, 2.0, -v92
	;; [unrolled: 1-line block ×3, first 2 shown]
	v_fmac_f32_e32 v18, 0xbf6c835e, v21
	v_fma_f32 v19, v19, 2.0, -v25
	v_mov_b32_e32 v0, v25
	v_sub_f32_e32 v33, v28, v32
	v_sub_f32_e32 v35, v34, v6
	v_sub_f32_e32 v42, v15, v5
	v_fma_f32 v37, v37, 2.0, -v38
	v_fma_f32 v13, v13, 2.0, -v27
	;; [unrolled: 1-line block ×3, first 2 shown]
	v_mov_b32_e32 v17, v19
	v_fmac_f32_e32 v0, 0x3f6c835e, v24
	v_sub_f32_e32 v30, v35, v27
	v_sub_f32_e32 v49, v37, v13
	v_fma_f32 v50, v15, 2.0, -v42
	v_fma_f32 v13, v29, 2.0, -v32
	v_fmac_f32_e32 v17, 0xbec3ef15, v21
	v_fma_f32 v21, v28, 2.0, -v33
	v_fmac_f32_e32 v0, 0x3ec3ef15, v55
	v_add_f32_e32 v40, v36, v38
	v_sub_f32_e32 v29, v50, v13
	v_fma_f32 v13, v23, 2.0, -v36
	v_fmac_f32_e32 v17, 0x3f6c835e, v22
	v_fma_f32 v23, v35, 2.0, -v30
	v_mov_b32_e32 v22, v21
	v_mov_b32_e32 v1, v94
	v_fma_f32 v3, v25, 2.0, -v0
	v_add_f32_e32 v43, v14, v42
	v_fma_f32 v44, v90, 2.0, -v93
	v_mov_b32_e32 v47, v2
	v_fmac_f32_e32 v22, 0xbf3504f3, v23
	v_fma_f32 v25, v38, 2.0, -v40
	v_fmac_f32_e32 v1, 0x3f6c835e, v55
	v_fma_f32 v9, v86, 2.0, -v89
	v_mov_b32_e32 v45, v44
	v_fma_f32 v39, v39, 2.0, -v54
	v_mov_b32_e32 v46, v31
	v_fmac_f32_e32 v47, 0xbf3504f3, v11
	v_fmac_f32_e32 v22, 0xbf3504f3, v25
	v_fma_f32 v27, v42, 2.0, -v43
	v_fmac_f32_e32 v1, 0xbec3ef15, v24
	v_fmac_f32_e32 v45, 0xbf3504f3, v9
	v_mov_b32_e32 v26, v39
	v_fmac_f32_e32 v46, 0xbf3504f3, v16
	v_fmac_f32_e32 v47, 0x3f3504f3, v9
	v_fma_f32 v24, v21, 2.0, -v22
	v_mov_b32_e32 v21, v27
	v_fmac_f32_e32 v45, 0xbf3504f3, v11
	v_fmac_f32_e32 v26, 0xbf3504f3, v12
	v_fmac_f32_e32 v46, 0x3f3504f3, v12
	v_mov_b32_e32 v9, v47
	v_fmac_f32_e32 v21, 0xbf3504f3, v25
	v_mov_b32_e32 v5, v43
	v_fmac_f32_e32 v26, 0xbf3504f3, v16
	;; [unrolled: 2-line block ×3, first 2 shown]
	v_fmac_f32_e32 v21, 0x3f3504f3, v23
	v_fma_f32 v25, v44, 2.0, -v45
	v_mov_b32_e32 v6, v33
	v_fmac_f32_e32 v5, 0x3f3504f3, v40
	v_fmac_f32_e32 v10, 0x3ec3ef15, v26
	;; [unrolled: 1-line block ×3, first 2 shown]
	v_fma_f32 v23, v27, 2.0, -v21
	v_fma_f32 v27, v39, 2.0, -v26
	v_mov_b32_e32 v26, v25
	v_fmac_f32_e32 v6, 0x3f3504f3, v30
	v_fmac_f32_e32 v5, 0x3f3504f3, v30
	;; [unrolled: 1-line block ×3, first 2 shown]
	v_fma_f32 v30, v31, 2.0, -v46
	v_fmac_f32_e32 v26, 0xbec3ef15, v30
	v_fma_f32 v2, v2, 2.0, -v47
	v_fma_f32 v28, v25, 2.0, -v26
	v_mov_b32_e32 v25, v2
	v_fma_f32 v14, v41, 2.0, -v14
	v_fma_f32 v32, v34, 2.0, -v35
	v_fmac_f32_e32 v25, 0xbf6c835e, v30
	v_sub_f32_e32 v41, v48, v14
	v_sub_f32_e32 v34, v32, v13
	v_fmac_f32_e32 v25, 0x3ec3ef15, v27
	v_fma_f32 v27, v2, 2.0, -v25
	v_fma_f32 v2, v48, 2.0, -v41
	;; [unrolled: 1-line block ×3, first 2 shown]
	v_add_f32_e32 v13, v29, v34
	v_sub_f32_e32 v30, v2, v30
	v_fma_f32 v15, v29, 2.0, -v13
	v_fma_f32 v32, v2, 2.0, -v30
	;; [unrolled: 1-line block ×4, first 2 shown]
	v_sub_f32_e32 v29, v2, v29
	v_fmac_f32_e32 v6, 0xbf3504f3, v40
	v_fmac_f32_e32 v10, 0xbf6c835e, v46
	v_sub_f32_e32 v14, v41, v49
	v_fma_f32 v31, v2, 2.0, -v29
	v_add_u32_e32 v2, 0x400, v106
	v_fma_f32 v4, v94, 2.0, -v1
	v_fma_f32 v8, v33, 2.0, -v6
	;; [unrolled: 1-line block ×7, first 2 shown]
	ds_write_b64 v107, v[31:32]
	ds_write2_b64 v106, v[27:28], v[23:24] offset0:26 offset1:52
	ds_write2_b64 v106, v[19:20], v[15:16] offset0:78 offset1:104
	;; [unrolled: 1-line block ×5, first 2 shown]
	v_add_u32_e32 v2, 0x800, v106
	ds_write2_b64 v2, v[17:18], v[13:14] offset0:30 offset1:56
	ds_write2_b64 v2, v[9:10], v[5:6] offset0:82 offset1:108
	ds_write_b64 v106, v[0:1] offset:3120
.LBB0_17:
	s_or_b64 exec, exec, s[2:3]
	v_mad_u64_u32 v[4:5], s[0:1], s10, v82, 0
	s_waitcnt lgkmcnt(0)
	; wave barrier
	s_waitcnt lgkmcnt(0)
	ds_read_b64 v[0:1], v107
	ds_read_b64 v[6:7], v106 offset:3072
	ds_read_b64 v[14:15], v103 offset:1536
	v_mov_b32_e32 v2, v5
	v_mad_u64_u32 v[2:3], s[0:1], s11, v82, v[2:3]
	s_waitcnt lgkmcnt(2)
	v_mul_f32_e32 v3, v81, v1
	v_fmac_f32_e32 v3, v80, v0
	v_mul_f32_e32 v0, v81, v0
	v_fma_f32 v0, v80, v1, -v0
	v_cvt_f64_f32_e32 v[8:9], v3
	v_cvt_f64_f32_e32 v[0:1], v0
	s_mov_b32 s0, 0x13b13b14
	v_mad_u64_u32 v[10:11], s[2:3], s8, v105, 0
	s_mov_b32 s1, 0x3f63b13b
	v_mul_f64 v[8:9], v[8:9], s[0:1]
	v_mul_f64 v[12:13], v[0:1], s[0:1]
	v_mov_b32_e32 v0, v11
	v_mov_b32_e32 v5, v2
	v_mad_u64_u32 v[16:17], s[2:3], s9, v105, v[0:1]
	ds_read2_b64 v[0:3], v106 offset0:32 offset1:64
	v_lshlrev_b64 v[4:5], 3, v[4:5]
	v_cvt_f32_f64_e32 v8, v[8:9]
	v_cvt_f32_f64_e32 v9, v[12:13]
	v_mov_b32_e32 v11, v16
	s_waitcnt lgkmcnt(0)
	v_mul_f32_e32 v12, v75, v1
	v_fmac_f32_e32 v12, v74, v0
	v_mul_f32_e32 v0, v75, v0
	v_fma_f32 v0, v74, v1, -v0
	v_cvt_f64_f32_e32 v[12:13], v12
	v_cvt_f64_f32_e32 v[0:1], v0
	v_mov_b32_e32 v16, s5
	v_add_co_u32_e32 v17, vcc, s4, v4
	v_addc_co_u32_e32 v16, vcc, v16, v5, vcc
	v_mul_f64 v[4:5], v[12:13], s[0:1]
	v_mul_f64 v[0:1], v[0:1], s[0:1]
	v_lshlrev_b64 v[10:11], 3, v[10:11]
	s_lshl_b64 s[2:3], s[8:9], 8
	v_add_co_u32_e32 v10, vcc, v17, v10
	v_addc_co_u32_e32 v11, vcc, v16, v11, vcc
	v_cvt_f32_f64_e32 v4, v[4:5]
	v_cvt_f32_f64_e32 v5, v[0:1]
	v_mul_f32_e32 v0, v61, v3
	v_fmac_f32_e32 v0, v60, v2
	v_cvt_f64_f32_e32 v[0:1], v0
	v_mul_f32_e32 v2, v61, v2
	v_fma_f32 v2, v60, v3, -v2
	v_cvt_f64_f32_e32 v[2:3], v2
	global_store_dwordx2 v[10:11], v[8:9], off
	v_mul_f64 v[8:9], v[0:1], s[0:1]
	v_mov_b32_e32 v16, s3
	v_mul_f64 v[12:13], v[2:3], s[0:1]
	ds_read2_b64 v[0:3], v106 offset0:96 offset1:128
	v_add_co_u32_e32 v10, vcc, s2, v10
	v_addc_co_u32_e32 v11, vcc, v11, v16, vcc
	global_store_dwordx2 v[10:11], v[4:5], off
	v_cvt_f32_f64_e32 v4, v[8:9]
	s_waitcnt lgkmcnt(0)
	v_mul_f32_e32 v8, v57, v1
	v_fmac_f32_e32 v8, v56, v0
	v_mul_f32_e32 v0, v57, v0
	v_cvt_f32_f64_e32 v5, v[12:13]
	v_cvt_f64_f32_e32 v[8:9], v8
	v_fma_f32 v0, v56, v1, -v0
	v_cvt_f64_f32_e32 v[0:1], v0
	v_add_co_u32_e32 v10, vcc, s2, v10
	v_addc_co_u32_e32 v11, vcc, v11, v16, vcc
	global_store_dwordx2 v[10:11], v[4:5], off
	v_mul_f64 v[4:5], v[8:9], s[0:1]
	v_mul_f32_e32 v8, v59, v3
	v_mul_f64 v[0:1], v[0:1], s[0:1]
	v_fmac_f32_e32 v8, v58, v2
	v_cvt_f64_f32_e32 v[8:9], v8
	v_mul_f32_e32 v2, v59, v2
	v_fma_f32 v2, v58, v3, -v2
	v_cvt_f64_f32_e32 v[2:3], v2
	v_mul_f64 v[8:9], v[8:9], s[0:1]
	v_cvt_f32_f64_e32 v4, v[4:5]
	v_cvt_f32_f64_e32 v5, v[0:1]
	v_mul_f64 v[12:13], v[2:3], s[0:1]
	ds_read2_b64 v[0:3], v106 offset0:160 offset1:224
	v_add_co_u32_e32 v10, vcc, s2, v10
	v_addc_co_u32_e32 v11, vcc, v11, v16, vcc
	global_store_dwordx2 v[10:11], v[4:5], off
	v_cvt_f32_f64_e32 v4, v[8:9]
	s_waitcnt lgkmcnt(0)
	v_mul_f32_e32 v8, v79, v1
	v_fmac_f32_e32 v8, v78, v0
	v_cvt_f64_f32_e32 v[8:9], v8
	v_mul_f32_e32 v0, v79, v0
	v_fma_f32 v0, v78, v1, -v0
	v_cvt_f64_f32_e32 v[0:1], v0
	v_mul_f64 v[8:9], v[8:9], s[0:1]
	v_cvt_f32_f64_e32 v5, v[12:13]
	v_mul_f32_e32 v12, v77, v15
	v_fmac_f32_e32 v12, v76, v14
	v_mul_f64 v[0:1], v[0:1], s[0:1]
	v_cvt_f64_f32_e32 v[12:13], v12
	v_mul_f32_e32 v14, v77, v14
	v_fma_f32 v14, v76, v15, -v14
	v_add_co_u32_e32 v10, vcc, s2, v10
	v_cvt_f64_f32_e32 v[14:15], v14
	v_addc_co_u32_e32 v11, vcc, v11, v16, vcc
	global_store_dwordx2 v[10:11], v[4:5], off
	v_cvt_f32_f64_e32 v4, v[8:9]
	v_mul_f64 v[8:9], v[12:13], s[0:1]
	v_mul_f64 v[12:13], v[14:15], s[0:1]
	v_cvt_f32_f64_e32 v5, v[0:1]
	v_add_co_u32_e32 v10, vcc, s2, v10
	v_mul_f32_e32 v0, v63, v3
	v_addc_co_u32_e32 v11, vcc, v11, v16, vcc
	v_fmac_f32_e32 v0, v62, v2
	global_store_dwordx2 v[10:11], v[4:5], off
	v_cvt_f32_f64_e32 v4, v[8:9]
	v_cvt_f64_f32_e32 v[8:9], v0
	v_mul_f32_e32 v0, v63, v2
	v_fma_f32 v0, v62, v3, -v0
	v_add_u32_e32 v17, 0x800, v106
	v_cvt_f32_f64_e32 v5, v[12:13]
	v_cvt_f64_f32_e32 v[12:13], v0
	ds_read2_b64 v[0:3], v17 offset1:32
	v_mul_f64 v[8:9], v[8:9], s[0:1]
	v_add_co_u32_e32 v10, vcc, s2, v10
	v_mul_f64 v[12:13], v[12:13], s[0:1]
	s_waitcnt lgkmcnt(0)
	v_mul_f32_e32 v14, v65, v1
	v_fmac_f32_e32 v14, v64, v0
	v_mul_f32_e32 v0, v65, v0
	v_fma_f32 v0, v64, v1, -v0
	v_cvt_f64_f32_e32 v[0:1], v0
	v_cvt_f64_f32_e32 v[14:15], v14
	v_addc_co_u32_e32 v11, vcc, v11, v16, vcc
	v_mul_f64 v[0:1], v[0:1], s[0:1]
	global_store_dwordx2 v[10:11], v[4:5], off
	v_cvt_f32_f64_e32 v4, v[8:9]
	v_mul_f64 v[8:9], v[14:15], s[0:1]
	v_cvt_f32_f64_e32 v5, v[12:13]
	v_add_co_u32_e32 v10, vcc, s2, v10
	v_addc_co_u32_e32 v11, vcc, v11, v16, vcc
	global_store_dwordx2 v[10:11], v[4:5], off
	v_cvt_f32_f64_e32 v5, v[0:1]
	v_mul_f32_e32 v0, v73, v3
	v_fmac_f32_e32 v0, v72, v2
	v_cvt_f32_f64_e32 v4, v[8:9]
	v_cvt_f64_f32_e32 v[8:9], v0
	v_mul_f32_e32 v0, v73, v2
	v_fma_f32 v0, v72, v3, -v0
	v_cvt_f64_f32_e32 v[12:13], v0
	ds_read2_b64 v[0:3], v17 offset0:64 offset1:96
	v_mul_f64 v[8:9], v[8:9], s[0:1]
	v_add_co_u32_e32 v10, vcc, s2, v10
	v_mul_f64 v[12:13], v[12:13], s[0:1]
	s_waitcnt lgkmcnt(0)
	v_mul_f32_e32 v14, v71, v1
	v_fmac_f32_e32 v14, v70, v0
	v_mul_f32_e32 v0, v71, v0
	v_fma_f32 v0, v70, v1, -v0
	v_cvt_f64_f32_e32 v[0:1], v0
	v_cvt_f64_f32_e32 v[14:15], v14
	v_addc_co_u32_e32 v11, vcc, v11, v16, vcc
	v_mul_f64 v[0:1], v[0:1], s[0:1]
	global_store_dwordx2 v[10:11], v[4:5], off
	v_cvt_f32_f64_e32 v4, v[8:9]
	v_mul_f64 v[8:9], v[14:15], s[0:1]
	v_cvt_f32_f64_e32 v5, v[12:13]
	v_add_co_u32_e32 v10, vcc, s2, v10
	v_addc_co_u32_e32 v11, vcc, v11, v16, vcc
	global_store_dwordx2 v[10:11], v[4:5], off
	v_cvt_f32_f64_e32 v5, v[0:1]
	v_mul_f32_e32 v0, v67, v3
	v_fmac_f32_e32 v0, v66, v2
	v_mul_f32_e32 v2, v67, v2
	v_fma_f32 v2, v66, v3, -v2
	v_cvt_f64_f32_e32 v[0:1], v0
	v_cvt_f64_f32_e32 v[2:3], v2
	v_cvt_f32_f64_e32 v4, v[8:9]
	v_add_co_u32_e32 v8, vcc, s2, v10
	v_mul_f32_e32 v10, v69, v7
	v_fmac_f32_e32 v10, v68, v6
	v_mul_f32_e32 v6, v69, v6
	v_fma_f32 v6, v68, v7, -v6
	v_addc_co_u32_e32 v9, vcc, v11, v16, vcc
	v_mul_f64 v[0:1], v[0:1], s[0:1]
	v_mul_f64 v[2:3], v[2:3], s[0:1]
	v_cvt_f64_f32_e32 v[10:11], v10
	v_cvt_f64_f32_e32 v[6:7], v6
	global_store_dwordx2 v[8:9], v[4:5], off
	v_mul_f64 v[4:5], v[10:11], s[0:1]
	v_mul_f64 v[6:7], v[6:7], s[0:1]
	v_cvt_f32_f64_e32 v0, v[0:1]
	v_cvt_f32_f64_e32 v1, v[2:3]
	v_add_co_u32_e32 v2, vcc, s2, v8
	v_addc_co_u32_e32 v3, vcc, v9, v16, vcc
	global_store_dwordx2 v[2:3], v[0:1], off
	v_cvt_f32_f64_e32 v0, v[4:5]
	v_cvt_f32_f64_e32 v1, v[6:7]
	v_add_co_u32_e32 v2, vcc, s2, v2
	v_addc_co_u32_e32 v3, vcc, v3, v16, vcc
	global_store_dwordx2 v[2:3], v[0:1], off
.LBB0_18:
	s_endpgm
	.section	.rodata,"a",@progbits
	.p2align	6, 0x0
	.amdhsa_kernel bluestein_single_fwd_len416_dim1_sp_op_CI_CI
		.amdhsa_group_segment_fixed_size 6656
		.amdhsa_private_segment_fixed_size 0
		.amdhsa_kernarg_size 104
		.amdhsa_user_sgpr_count 6
		.amdhsa_user_sgpr_private_segment_buffer 1
		.amdhsa_user_sgpr_dispatch_ptr 0
		.amdhsa_user_sgpr_queue_ptr 0
		.amdhsa_user_sgpr_kernarg_segment_ptr 1
		.amdhsa_user_sgpr_dispatch_id 0
		.amdhsa_user_sgpr_flat_scratch_init 0
		.amdhsa_user_sgpr_private_segment_size 0
		.amdhsa_uses_dynamic_stack 0
		.amdhsa_system_sgpr_private_segment_wavefront_offset 0
		.amdhsa_system_sgpr_workgroup_id_x 1
		.amdhsa_system_sgpr_workgroup_id_y 0
		.amdhsa_system_sgpr_workgroup_id_z 0
		.amdhsa_system_sgpr_workgroup_info 0
		.amdhsa_system_vgpr_workitem_id 0
		.amdhsa_next_free_vgpr 154
		.amdhsa_next_free_sgpr 20
		.amdhsa_reserve_vcc 1
		.amdhsa_reserve_flat_scratch 0
		.amdhsa_float_round_mode_32 0
		.amdhsa_float_round_mode_16_64 0
		.amdhsa_float_denorm_mode_32 3
		.amdhsa_float_denorm_mode_16_64 3
		.amdhsa_dx10_clamp 1
		.amdhsa_ieee_mode 1
		.amdhsa_fp16_overflow 0
		.amdhsa_exception_fp_ieee_invalid_op 0
		.amdhsa_exception_fp_denorm_src 0
		.amdhsa_exception_fp_ieee_div_zero 0
		.amdhsa_exception_fp_ieee_overflow 0
		.amdhsa_exception_fp_ieee_underflow 0
		.amdhsa_exception_fp_ieee_inexact 0
		.amdhsa_exception_int_div_zero 0
	.end_amdhsa_kernel
	.text
.Lfunc_end0:
	.size	bluestein_single_fwd_len416_dim1_sp_op_CI_CI, .Lfunc_end0-bluestein_single_fwd_len416_dim1_sp_op_CI_CI
                                        ; -- End function
	.section	.AMDGPU.csdata,"",@progbits
; Kernel info:
; codeLenInByte = 13236
; NumSgprs: 24
; NumVgprs: 154
; ScratchSize: 0
; MemoryBound: 0
; FloatMode: 240
; IeeeMode: 1
; LDSByteSize: 6656 bytes/workgroup (compile time only)
; SGPRBlocks: 2
; VGPRBlocks: 38
; NumSGPRsForWavesPerEU: 24
; NumVGPRsForWavesPerEU: 154
; Occupancy: 1
; WaveLimiterHint : 1
; COMPUTE_PGM_RSRC2:SCRATCH_EN: 0
; COMPUTE_PGM_RSRC2:USER_SGPR: 6
; COMPUTE_PGM_RSRC2:TRAP_HANDLER: 0
; COMPUTE_PGM_RSRC2:TGID_X_EN: 1
; COMPUTE_PGM_RSRC2:TGID_Y_EN: 0
; COMPUTE_PGM_RSRC2:TGID_Z_EN: 0
; COMPUTE_PGM_RSRC2:TIDIG_COMP_CNT: 0
	.type	__hip_cuid_94502d574d9f98b,@object ; @__hip_cuid_94502d574d9f98b
	.section	.bss,"aw",@nobits
	.globl	__hip_cuid_94502d574d9f98b
__hip_cuid_94502d574d9f98b:
	.byte	0                               ; 0x0
	.size	__hip_cuid_94502d574d9f98b, 1

	.ident	"AMD clang version 19.0.0git (https://github.com/RadeonOpenCompute/llvm-project roc-6.4.0 25133 c7fe45cf4b819c5991fe208aaa96edf142730f1d)"
	.section	".note.GNU-stack","",@progbits
	.addrsig
	.addrsig_sym __hip_cuid_94502d574d9f98b
	.amdgpu_metadata
---
amdhsa.kernels:
  - .args:
      - .actual_access:  read_only
        .address_space:  global
        .offset:         0
        .size:           8
        .value_kind:     global_buffer
      - .actual_access:  read_only
        .address_space:  global
        .offset:         8
        .size:           8
        .value_kind:     global_buffer
      - .actual_access:  read_only
        .address_space:  global
        .offset:         16
        .size:           8
        .value_kind:     global_buffer
      - .actual_access:  read_only
        .address_space:  global
        .offset:         24
        .size:           8
        .value_kind:     global_buffer
      - .actual_access:  read_only
        .address_space:  global
        .offset:         32
        .size:           8
        .value_kind:     global_buffer
      - .offset:         40
        .size:           8
        .value_kind:     by_value
      - .address_space:  global
        .offset:         48
        .size:           8
        .value_kind:     global_buffer
      - .address_space:  global
        .offset:         56
        .size:           8
        .value_kind:     global_buffer
      - .address_space:  global
        .offset:         64
        .size:           8
        .value_kind:     global_buffer
      - .address_space:  global
        .offset:         72
        .size:           8
        .value_kind:     global_buffer
      - .offset:         80
        .size:           4
        .value_kind:     by_value
      - .address_space:  global
        .offset:         88
        .size:           8
        .value_kind:     global_buffer
      - .address_space:  global
        .offset:         96
        .size:           8
        .value_kind:     global_buffer
    .group_segment_fixed_size: 6656
    .kernarg_segment_align: 8
    .kernarg_segment_size: 104
    .language:       OpenCL C
    .language_version:
      - 2
      - 0
    .max_flat_workgroup_size: 64
    .name:           bluestein_single_fwd_len416_dim1_sp_op_CI_CI
    .private_segment_fixed_size: 0
    .sgpr_count:     24
    .sgpr_spill_count: 0
    .symbol:         bluestein_single_fwd_len416_dim1_sp_op_CI_CI.kd
    .uniform_work_group_size: 1
    .uses_dynamic_stack: false
    .vgpr_count:     154
    .vgpr_spill_count: 0
    .wavefront_size: 64
amdhsa.target:   amdgcn-amd-amdhsa--gfx906
amdhsa.version:
  - 1
  - 2
...

	.end_amdgpu_metadata
